;; amdgpu-corpus repo=ROCm/aiter kind=harvested arch=n/a opt=n/a

/root/src/amdgpu-assembly/repos/ROCm__aiter/hsa/gfx942/fmoe_2stages/fmoe_stage1_bf16_pertokenFp8_g1u1_80x64_2tg_pf3.co:	file format elf64-amdgpu

Disassembly of section .text:

0000000000002a00 <_ZN5aiter47fmoe_stage1_bf16_pertokenFp8_g1u1_80x64_2tg_pf3E>:
	s_and_b32 s1, s1, 0xffff                                   // 000000002A00: 8601FF01 0000FFFF
	s_load_dwordx2 s[8:9], s[0:1], 0x0                         // 000000002A08: C0060200 00000000
	s_load_dwordx2 s[20:21], s[0:1], 0x10                      // 000000002A10: C0060500 00000010
	s_load_dwordx2 s[24:25], s[0:1], 0x20                      // 000000002A18: C0060600 00000020
	s_load_dwordx2 s[48:49], s[0:1], 0x30                      // 000000002A20: C0060C00 00000030
	s_load_dwordx2 s[28:29], s[0:1], 0x40                      // 000000002A28: C0060700 00000040
	s_load_dwordx2 s[32:33], s[0:1], 0x50                      // 000000002A30: C0060800 00000050
	s_load_dwordx2 s[36:37], s[0:1], 0x60                      // 000000002A38: C0060900 00000060
	s_load_dwordx2 s[12:13], s[0:1], 0x70                      // 000000002A40: C0060300 00000070
	s_load_dwordx2 s[44:45], s[0:1], 0x80                      // 000000002A48: C0060B00 00000080
	s_mov_b32 s89, 0                                           // 000000002A50: BED90080
	s_load_dword s64, s[0:1], 0x90                             // 000000002A54: C0021000 00000090
	s_load_dword s65, s[0:1], 0xa0                             // 000000002A5C: C0021040 000000A0
	s_load_dword s66, s[0:1], 0xb0                             // 000000002A64: C0021080 000000B0
	s_load_dword s67, s[0:1], 0xc0                             // 000000002A6C: C00210C0 000000C0
	s_load_dword s68, s[0:1], 0xd0                             // 000000002A74: C0021100 000000D0
	s_load_dword s69, s[0:1], 0xe0                             // 000000002A7C: C0021140 000000E0
	s_load_dword s71, s[0:1], 0xf0                             // 000000002A84: C00211C0 000000F0
	s_load_dword s72, s[0:1], 0x100                            // 000000002A8C: C0021200 00000100
	s_load_dword s74, s[0:1], 0x110                            // 000000002A94: C0021280 00000110
	s_load_dword s76, s[0:1], 0x120                            // 000000002A9C: C0021300 00000120
	s_load_dword s56, s[0:1], 0x130                            // 000000002AA4: C0020E00 00000130
	s_load_dword s88, s[0:1], 0x140                            // 000000002AAC: C0021600 00000140
	s_load_dword s89, s[0:1], 0x150                            // 000000002AB4: C0021640 00000150
	v_lshrrev_b32_e32 v1, 10, v0                               // 000000002ABC: 2002008A
	v_lshrrev_b32_e32 v2, 10, v1                               // 000000002AC0: 2004028A
	v_and_b32_e32 v2, 0x3ff, v2                                // 000000002AC4: 260404FF 000003FF
	v_and_b32_e32 v1, 0x3ff, v1                                // 000000002ACC: 260202FF 000003FF
	v_and_b32_e32 v0, 0x3ff, v0                                // 000000002AD4: 260000FF 000003FF
	v_lshrrev_b32_e32 v3, 6, v0                                // 000000002ADC: 20060086
	v_and_b32_e32 v0, 63, v0                                   // 000000002AE0: 260000BF
	s_mov_b32 s2, s2                                           // 000000002AE4: BE820002
	s_mov_b32 s3, s3                                           // 000000002AE8: BE830003
	s_mov_b32 s4, s4                                           // 000000002AEC: BE840004
	v_readfirstlane_b32 s7, v3                                 // 000000002AF0: 7E0E0503
	s_waitcnt lgkmcnt(0)                                       // 000000002AF4: BF8CC07F
	s_and_b32 s49, s49, 0xffff                                 // 000000002AF8: 8631FF31 0000FFFF
	s_load_dword s48, s[48:49], 0x0                            // 000000002B00: C0020C18 00000000
	s_and_b32 s45, s45, 0xffff                                 // 000000002B08: 862DFF2D 0000FFFF
	s_and_b32 s9, s9, 0xffff                                   // 000000002B10: 8609FF09 0000FFFF
	s_mul_i32 s60, s66, s68                                    // 000000002B18: 923C4442
	s_mul_i32 s61, s66, 4                                      // 000000002B1C: 923D8442
	s_mov_b32 s22, s60                                         // 000000002B20: BE96003C
	s_mov_b32 s26, -16                                         // 000000002B24: BE9A00D0
	s_mov_b32 s30, s61                                         // 000000002B28: BE9E003D
	s_mov_b32 s14, 0x140                                       // 000000002B2C: BE8E00FF 00000140
	s_mov_b32 s38, -16                                         // 000000002B34: BEA600D0
	s_mov_b32 s10, -16                                         // 000000002B38: BE8A00D0
	s_mov_b32 s34, 0x100                                       // 000000002B3C: BEA200FF 00000100
	s_mov_b32 s23, 0x20000                                     // 000000002B44: BE9700FF 00020000
	s_mov_b32 s27, 0x20000                                     // 000000002B4C: BE9B00FF 00020000
	s_mov_b32 s31, 0x20000                                     // 000000002B54: BE9F00FF 00020000
	s_mov_b32 s35, 0x20000                                     // 000000002B5C: BEA300FF 00020000
	s_mov_b32 s15, 0x20000                                     // 000000002B64: BE8F00FF 00020000
	s_mov_b32 s39, 0x20000                                     // 000000002B6C: BEA700FF 00020000
	s_mov_b32 s11, 0x20000                                     // 000000002B74: BE8B00FF 00020000
	s_and_b32 s21, s21, 0xffff                                 // 000000002B7C: 8615FF15 0000FFFF
	s_and_b32 s25, s25, 0xffff                                 // 000000002B84: 8619FF19 0000FFFF
	s_and_b32 s29, s29, 0xffff                                 // 000000002B8C: 861DFF1D 0000FFFF
	s_and_b32 s33, s33, 0xffff                                 // 000000002B94: 8621FF21 0000FFFF
	s_and_b32 s13, s13, 0xffff                                 // 000000002B9C: 860DFF0D 0000FFFF
	s_and_b32 s37, s37, 0xffff                                 // 000000002BA4: 8625FF25 0000FFFF
	s_or_b32 s21, s21, 0x40000                                 // 000000002BAC: 8715FF15 00040000
	s_or_b32 s25, s25, 0x40000                                 // 000000002BB4: 8719FF19 00040000
	s_or_b32 s29, s29, 0x40000                                 // 000000002BBC: 871DFF1D 00040000
	s_or_b32 s33, s33, 0x40000                                 // 000000002BC4: 8721FF21 00040000
	s_or_b32 s13, s13, 0x40000                                 // 000000002BCC: 870DFF0D 00040000
	s_or_b32 s37, s37, 0x40000                                 // 000000002BD4: 8725FF25 00040000
	v_accvgpr_write_b32 a103, 0                                // 000000002BDC: D3D94067 18000080
	v_mov_b32_e32 v103, 0                                      // 000000002BE4: 7ECE0280
	s_waitcnt lgkmcnt(0)                                       // 000000002BE8: BF8CC07F
	s_mul_i32 s60, s3, 0x50                                    // 000000002BEC: 923CFF03 00000050
	s_cmp_lt_i32 s60, s48                                      // 000000002BF4: BF04303C
	s_cbranch_scc0 label_1BB7                                  // 000000002BF8: BF841B35
	s_mov_b32 s80, 0                                           // 000000002BFC: BED00080
	s_lshr_b32 s81, s64, s88                                   // 000000002C00: 8F515840
	s_mul_i32 s60, s3, 4                                       // 000000002C04: 923C8403
	s_add_u32 s44, s60, s44                                    // 000000002C08: 802C2C3C
	s_addc_u32 s45, 0, s45                                     // 000000002C0C: 822D2D80
	s_load_dword s5, s[44:45], 0x0                             // 000000002C10: C0020156 00000000
	s_mul_i32 s60, s3, 0x50                                    // 000000002C18: 923CFF03 00000050
	s_mul_i32 s60, 4, s60                                      // 000000002C20: 923C3C84
	s_add_u32 s12, s60, s12                                    // 000000002C24: 800C0C3C
	s_addc_u32 s13, 0, s13                                     // 000000002C28: 820D0D80
	v_and_b32_e32 v4, 15, v0                                   // 000000002C2C: 2608008F
	v_lshlrev_b32_e32 v4, 2, v4                                // 000000002C30: 24080882
	buffer_load_dword v30, v4, s[12:15], 0 offen               // 000000002C34: E0501000 80031E04
	v_add_u32_e32 v4, 64, v4                                   // 000000002C3C: 680808C0
	buffer_load_dword v31, v4, s[12:15], 0 offen               // 000000002C40: E0501000 80031F04
	v_add_u32_e32 v4, 64, v4                                   // 000000002C48: 680808C0
	buffer_load_dword v32, v4, s[12:15], 0 offen               // 000000002C4C: E0501000 80032004
	v_add_u32_e32 v4, 64, v4                                   // 000000002C54: 680808C0
	buffer_load_dword v33, v4, s[12:15], 0 offen               // 000000002C58: E0501000 80032104
	v_add_u32_e32 v4, 64, v4                                   // 000000002C60: 680808C0
	buffer_load_dword v34, v4, s[12:15], 0 offen               // 000000002C64: E0501000 80032204
	v_add_u32_e32 v4, 64, v4                                   // 000000002C6C: 680808C0
	s_mul_i32 s60, 4, s7                                       // 000000002C70: 923C0784
	v_lshlrev_b32_e32 v4, 4, v0                                // 000000002C74: 24080084
	v_add_u32_e32 v4, s60, v4                                  // 000000002C78: 6808083C
	buffer_load_dword v3, v4, s[12:15], 0 offen                // 000000002C7C: E0501000 80030304
	v_mov_b32_e32 v64, 0                                       // 000000002C84: 7E800280
	v_mov_b32_e32 v84, 0                                       // 000000002C88: 7EA80280
	v_mov_b32_e32 v65, 0                                       // 000000002C8C: 7E820280
	v_mov_b32_e32 v85, 0                                       // 000000002C90: 7EAA0280
	v_mov_b32_e32 v66, 0                                       // 000000002C94: 7E840280
	v_mov_b32_e32 v86, 0                                       // 000000002C98: 7EAC0280
	v_mov_b32_e32 v67, 0                                       // 000000002C9C: 7E860280
	v_mov_b32_e32 v87, 0                                       // 000000002CA0: 7EAE0280
	v_mov_b32_e32 v68, 0                                       // 000000002CA4: 7E880280
	v_mov_b32_e32 v88, 0                                       // 000000002CA8: 7EB00280
	v_mov_b32_e32 v69, 0                                       // 000000002CAC: 7E8A0280
	v_mov_b32_e32 v89, 0                                       // 000000002CB0: 7EB20280
	v_mov_b32_e32 v70, 0                                       // 000000002CB4: 7E8C0280
	v_mov_b32_e32 v90, 0                                       // 000000002CB8: 7EB40280
	v_mov_b32_e32 v71, 0                                       // 000000002CBC: 7E8E0280
	v_mov_b32_e32 v91, 0                                       // 000000002CC0: 7EB60280
	v_mov_b32_e32 v72, 0                                       // 000000002CC4: 7E900280
	v_mov_b32_e32 v92, 0                                       // 000000002CC8: 7EB80280
	v_mov_b32_e32 v73, 0                                       // 000000002CCC: 7E920280
	v_mov_b32_e32 v93, 0                                       // 000000002CD0: 7EBA0280
	v_mov_b32_e32 v74, 0                                       // 000000002CD4: 7E940280
	v_mov_b32_e32 v94, 0                                       // 000000002CD8: 7EBC0280
	v_mov_b32_e32 v75, 0                                       // 000000002CDC: 7E960280
	v_mov_b32_e32 v95, 0                                       // 000000002CE0: 7EBE0280
	v_mov_b32_e32 v76, 0                                       // 000000002CE4: 7E980280
	v_mov_b32_e32 v96, 0                                       // 000000002CE8: 7EC00280
	v_mov_b32_e32 v77, 0                                       // 000000002CEC: 7E9A0280
	v_mov_b32_e32 v97, 0                                       // 000000002CF0: 7EC20280
	v_mov_b32_e32 v78, 0                                       // 000000002CF4: 7E9C0280
	v_mov_b32_e32 v98, 0                                       // 000000002CF8: 7EC40280
	v_mov_b32_e32 v79, 0                                       // 000000002CFC: 7E9E0280
	v_mov_b32_e32 v99, 0                                       // 000000002D00: 7EC60280
	v_mov_b32_e32 v80, 0                                       // 000000002D04: 7EA00280
	v_mov_b32_e32 v100, 0                                      // 000000002D08: 7EC80280
	v_mov_b32_e32 v81, 0                                       // 000000002D0C: 7EA20280
	v_mov_b32_e32 v101, 0                                      // 000000002D10: 7ECA0280
	v_mov_b32_e32 v82, 0                                       // 000000002D14: 7EA40280
	v_mov_b32_e32 v102, 0                                      // 000000002D18: 7ECC0280
	v_mov_b32_e32 v83, 0                                       // 000000002D1C: 7EA60280
	v_mov_b32_e32 v103, 0                                      // 000000002D20: 7ECE0280
	s_mul_i32 s60, s2, 0x80                                    // 000000002D24: 923CFF02 00000080
	s_cmp_eq_u32 s88, 0                                        // 000000002D2C: BF068058
	s_cselect_b32 s61, 1, 2                                    // 000000002D30: 853D8281
	s_mul_i32 s60, s60, s61                                    // 000000002D34: 923C3D3C
	s_mov_b32 s90, s8                                          // 000000002D38: BEDA0008
	s_mov_b32 s91, s9                                          // 000000002D3C: BEDB0009
	s_add_u32 s8, s60, s8                                      // 000000002D40: 8008083C
	s_addc_u32 s9, 0, s9                                       // 000000002D44: 82090980
	v_lshrrev_b32_e32 v4, 4, v0                                // 000000002D48: 20080084
	v_mul_lo_u32 v20, 34, v4                                   // 000000002D4C: D2850014 000208A2
	v_and_b32_e32 v4, 15, v0                                   // 000000002D54: 2608008F
	v_mul_lo_u32 v5, 2, v4                                     // 000000002D58: D2850005 00020882
	v_add_u32_e32 v20, v5, v20                                 // 000000002D60: 68282905
	s_mul_i32 s60, s7, 0x88                                    // 000000002D64: 923CFF07 00000088
	v_add_u32_e32 v20, s60, v20                                // 000000002D6C: 6828283C
	v_lshlrev_b32_e32 v20, 2, v20                              // 000000002D70: 24282882
	v_and_b32_e32 v4, 31, v0                                   // 000000002D74: 2608009F
	v_lshrrev_b32_e32 v4, 1, v4                                // 000000002D78: 20080881
	v_mul_lo_u32 v21, 34, v4                                   // 000000002D7C: D2850015 000208A2
	v_lshrrev_b32_e32 v4, 5, v0                                // 000000002D84: 20080085
	v_mul_lo_u32 v4, 8, v4                                     // 000000002D88: D2850004 00020888
	v_add_u32_e32 v21, v21, v4                                 // 000000002D90: 682A0915
	v_and_b32_e32 v5, 1, v0                                    // 000000002D94: 260A0081
	v_add_u32_e32 v21, v5, v21                                 // 000000002D98: 682A2B05
	s_mul_i32 s60, s7, 2                                       // 000000002D9C: 923C8207
	v_add_u32_e32 v21, s60, v21                                // 000000002DA0: 682A2A3C
	v_lshlrev_b32_e32 v21, 2, v21                              // 000000002DA4: 242A2A82
	s_mul_i32 s60, s7, 0xa20                                   // 000000002DA8: 923CFF07 00000A20
	s_add_u32 s48, 0, s60                                      // 000000002DB0: 80303C80
	s_add_u32 s49, 0x2880, s48                                 // 000000002DB4: 803130FF 00002880
	s_add_u32 s50, 0x2880, s49                                 // 000000002DBC: 803231FF 00002880
	v_lshrrev_b32_e32 v4, 4, v0                                // 000000002DC4: 20080084
	v_lshlrev_b32_e32 v5, 2, v4                                // 000000002DC8: 240A0882
	v_and_b32_e32 v4, 15, v0                                   // 000000002DCC: 2608008F
	v_lshrrev_b32_e32 v6, 2, v4                                // 000000002DD0: 200C0882
	v_lshlrev_b32_e32 v6, 5, v6                                // 000000002DD4: 240C0C85
	v_add_u32_e32 v5, v6, v5                                   // 000000002DD8: 680A0B06
	v_and_b32_e32 v4, 3, v0                                    // 000000002DDC: 26080083
	v_mul_u32_u24_e32 v6, 0x288, v4                            // 000000002DE0: 100C08FF 00000288
	v_add_u32_e32 v5, v6, v5                                   // 000000002DE8: 680A0B06
	v_lshlrev_b32_e32 v2, 2, v5                                // 000000002DEC: 24040A82
	s_waitcnt lgkmcnt(0)                                       // 000000002DF0: BF8CC07F
	s_mul_i32 s60, s2, 64                                      // 000000002DF4: 923CC002
	s_mul_i32 s60, s60, s69                                    // 000000002DF8: 923C453C
	s_mul_i32 s61, s5, s72                                     // 000000002DFC: 923D4805
	s_add_u32 s60, s61, s60                                    // 000000002E00: 803C3C3D
	s_add_u32 s24, s60, s24                                    // 000000002E04: 8018183C
	s_addc_u32 s25, 0, s25                                     // 000000002E08: 82191980
	s_lshr_b32 s60, s64, s88                                   // 000000002E0C: 8F3C5840
	s_mul_i32 s60, s4, s60                                     // 000000002E10: 923C3C04
	s_lshr_b32 s60, s60, 7                                     // 000000002E14: 8F3C873C
	s_mul_i32 s60, s60, 0x800                                  // 000000002E18: 923CFF3C 00000800
	s_add_u32 s24, s60, s24                                    // 000000002E20: 8018183C
	s_addc_u32 s25, 0, s25                                     // 000000002E24: 82191980
	s_lshr_b32 s60, s69, s88                                   // 000000002E28: 8F3C5845
	s_mul_i32 s60, s4, s60                                     // 000000002E2C: 923C3C04
	s_add_u32 s20, s60, s20                                    // 000000002E30: 8014143C
	s_addc_u32 s21, 0, s21                                     // 000000002E34: 82151580
	s_mul_i32 s60, s7, 16                                      // 000000002E38: 923C9007
	s_mul_i32 s60, s60, s69                                    // 000000002E3C: 923C453C
	v_lshlrev_b32_e32 v60, 4, v0                               // 000000002E40: 24780084
	v_add_u32_e32 v60, s60, v60                                // 000000002E44: 6878783C
	s_mul_i32 s60, 64, s69                                     // 000000002E48: 923C45C0
	s_mov_b32 s84, s24                                         // 000000002E4C: BED40018
	s_mov_b32 s85, s25                                         // 000000002E50: BED50019
	s_mov_b32 s86, s26                                         // 000000002E54: BED6001A
	s_mov_b32 s87, s27                                         // 000000002E58: BED7001B
	s_mul_i32 s60, s69, s65                                    // 000000002E5C: 923C4145
	s_add_u32 s84, s60, s84                                    // 000000002E60: 8054543C
	s_addc_u32 s85, 0, s85                                     // 000000002E64: 82555580
	v_lshrrev_b32_e32 v4, 4, v0                                // 000000002E68: 20080084
	v_lshlrev_b32_e32 v5, 2, v4                                // 000000002E6C: 240A0882
	v_and_b32_e32 v4, 15, v0                                   // 000000002E70: 2608008F
	v_lshrrev_b32_e32 v6, 2, v4                                // 000000002E74: 200C0882
	v_lshlrev_b32_e32 v6, 6, v6                                // 000000002E78: 240C0C86
	v_add_u32_e32 v5, v6, v5                                   // 000000002E7C: 680A0B06
	v_and_b32_e32 v4, 3, v0                                    // 000000002E80: 26080083
	v_add_u32_e32 v5, v4, v5                                   // 000000002E84: 680A0B04
	v_lshlrev_b32_e32 v22, 2, v5                               // 000000002E88: 242C0A82
	s_mul_i32 s60, s7, 16                                      // 000000002E8C: 923C9007
	s_mul_i32 s60, s60, 4                                      // 000000002E90: 923C843C
	v_add_u32_e32 v22, s60, v22                                // 000000002E94: 682C2C3C
	s_mul_i32 s60, s2, 64                                      // 000000002E98: 923CC002
	s_mul_i32 s60, s60, 4                                      // 000000002E9C: 923C843C
	s_mul_i32 s61, s5, s74                                     // 000000002EA0: 923D4A05
	s_add_u32 s61, s61, s60                                    // 000000002EA4: 803D3C3D
	s_add_u32 s32, s61, s32                                    // 000000002EA8: 8020203D
	s_addc_u32 s33, 0, s33                                     // 000000002EAC: 82212180
	s_mov_b32 s57, 0x80                                        // 000000002EB0: BEB900FF 00000080
	s_mov_b32 s58, 0x800                                       // 000000002EB8: BEBA00FF 00000800
	s_mov_b32 s83, s58                                         // 000000002EC0: BED3003A
	s_mov_b32 s52, 0x7060302                                   // 000000002EC4: BEB400FF 07060302
	s_mov_b32 s53, 0x400                                       // 000000002ECC: BEB500FF 00000400
	s_mov_b32 s54, 0x40100                                     // 000000002ED4: BEB600FF 00040100
	s_mov_b32 s55, 0x4020100                                   // 000000002EDC: BEB700FF 04020100
	s_mov_b32 s6, 0x3fb8aa3b                                   // 000000002EE4: BE8600FF 3FB8AA3B
	s_mov_b32 s78, 0xbd92220c                                  // 000000002EEC: BECE00FF BD92220C
	s_mov_b32 s79, 0xbd92220c                                  // 000000002EF4: BECF00FF BD92220C
	s_mov_b32 m0, s48                                          // 000000002EFC: BEFC0030
	v_mov_b32_e32 v1, 0xbfcc4231                               // 000000002F00: 7E0202FF BFCC4231
	v_mov_b32_e32 v17, 0xffff0000                              // 000000002F08: 7E2202FF FFFF0000
	v_mov_b32_e32 v18, 0x7fff0000                              // 000000002F10: 7E2402FF 7FFF0000
	v_mov_b32_e32 v19, 0x7fff                                  // 000000002F18: 7E2602FF 00007FFF
	s_waitcnt vmcnt(0) expcnt(0) lgkmcnt(0)                    // 000000002F20: BF8C0000
	v_lshrrev_b32_e32 v4, 5, v0                                // 000000002F24: 20080085
	v_xor_b32_e32 v5, 1, v4                                    // 000000002F28: 2A0A0881
	v_readlane_b32 s82, v3, 0                                  // 000000002F2C: D2890052 00010103
	s_and_b32 s82, s82, 0xffffff                               // 000000002F34: 8652FF52 00FFFFFF
	v_mul_lo_u32 v6, v5, s82                                   // 000000002F3C: D2850006 0000A505
	v_readlane_b32 s82, v3, 1                                  // 000000002F44: D2890052 00010303
	s_and_b32 s82, s82, 0xffffff                               // 000000002F4C: 8652FF52 00FFFFFF
	v_mul_lo_u32 v7, v4, s82                                   // 000000002F54: D2850007 0000A504
	v_add_u32_e32 v50, v6, v7                                  // 000000002F5C: 68640F06
	v_mul_lo_u32 v50, v50, s68                                 // 000000002F60: D2850032 00008932
	v_readlane_b32 s82, v3, 2                                  // 000000002F68: D2890052 00010503
	s_and_b32 s82, s82, 0xffffff                               // 000000002F70: 8652FF52 00FFFFFF
	v_mul_lo_u32 v6, v5, s82                                   // 000000002F78: D2850006 0000A505
	v_readlane_b32 s82, v3, 3                                  // 000000002F80: D2890052 00010703
	s_and_b32 s82, s82, 0xffffff                               // 000000002F88: 8652FF52 00FFFFFF
	v_mul_lo_u32 v7, v4, s82                                   // 000000002F90: D2850007 0000A504
	v_add_u32_e32 v51, v6, v7                                  // 000000002F98: 68660F06
	v_mul_lo_u32 v51, v51, s68                                 // 000000002F9C: D2850033 00008933
	v_readlane_b32 s82, v3, 4                                  // 000000002FA4: D2890052 00010903
	s_and_b32 s82, s82, 0xffffff                               // 000000002FAC: 8652FF52 00FFFFFF
	v_mul_lo_u32 v6, v5, s82                                   // 000000002FB4: D2850006 0000A505
	v_readlane_b32 s82, v3, 5                                  // 000000002FBC: D2890052 00010B03
	s_and_b32 s82, s82, 0xffffff                               // 000000002FC4: 8652FF52 00FFFFFF
	v_mul_lo_u32 v7, v4, s82                                   // 000000002FCC: D2850007 0000A504
	v_add_u32_e32 v52, v6, v7                                  // 000000002FD4: 68680F06
	v_mul_lo_u32 v52, v52, s68                                 // 000000002FD8: D2850034 00008934
	v_readlane_b32 s82, v3, 6                                  // 000000002FE0: D2890052 00010D03
	s_and_b32 s82, s82, 0xffffff                               // 000000002FE8: 8652FF52 00FFFFFF
	v_mul_lo_u32 v6, v5, s82                                   // 000000002FF0: D2850006 0000A505
	v_readlane_b32 s82, v3, 7                                  // 000000002FF8: D2890052 00010F03
	s_and_b32 s82, s82, 0xffffff                               // 000000003000: 8652FF52 00FFFFFF
	v_mul_lo_u32 v7, v4, s82                                   // 000000003008: D2850007 0000A504
	v_add_u32_e32 v53, v6, v7                                  // 000000003010: 686A0F06
	v_mul_lo_u32 v53, v53, s68                                 // 000000003014: D2850035 00008935
	v_readlane_b32 s82, v3, 8                                  // 00000000301C: D2890052 00011103
	s_and_b32 s82, s82, 0xffffff                               // 000000003024: 8652FF52 00FFFFFF
	v_mul_lo_u32 v6, v5, s82                                   // 00000000302C: D2850006 0000A505
	v_readlane_b32 s82, v3, 9                                  // 000000003034: D2890052 00011303
	s_and_b32 s82, s82, 0xffffff                               // 00000000303C: 8652FF52 00FFFFFF
	v_mul_lo_u32 v7, v4, s82                                   // 000000003044: D2850007 0000A504
	v_add_u32_e32 v54, v6, v7                                  // 00000000304C: 686C0F06
	v_mul_lo_u32 v54, v54, s68                                 // 000000003050: D2850036 00008936
	v_readlane_b32 s82, v3, 10                                 // 000000003058: D2890052 00011503
	s_and_b32 s82, s82, 0xffffff                               // 000000003060: 8652FF52 00FFFFFF
	v_mul_lo_u32 v6, v5, s82                                   // 000000003068: D2850006 0000A505
	v_readlane_b32 s82, v3, 11                                 // 000000003070: D2890052 00011703
	s_and_b32 s82, s82, 0xffffff                               // 000000003078: 8652FF52 00FFFFFF
	v_mul_lo_u32 v7, v4, s82                                   // 000000003080: D2850007 0000A504
	v_add_u32_e32 v55, v6, v7                                  // 000000003088: 686E0F06
	v_mul_lo_u32 v55, v55, s68                                 // 00000000308C: D2850037 00008937
	v_readlane_b32 s82, v3, 12                                 // 000000003094: D2890052 00011903
	s_and_b32 s82, s82, 0xffffff                               // 00000000309C: 8652FF52 00FFFFFF
	v_mul_lo_u32 v6, v5, s82                                   // 0000000030A4: D2850006 0000A505
	v_readlane_b32 s82, v3, 13                                 // 0000000030AC: D2890052 00011B03
	s_and_b32 s82, s82, 0xffffff                               // 0000000030B4: 8652FF52 00FFFFFF
	v_mul_lo_u32 v7, v4, s82                                   // 0000000030BC: D2850007 0000A504
	v_add_u32_e32 v56, v6, v7                                  // 0000000030C4: 68700F06
	v_mul_lo_u32 v56, v56, s68                                 // 0000000030C8: D2850038 00008938
	v_readlane_b32 s82, v3, 14                                 // 0000000030D0: D2890052 00011D03
	s_and_b32 s82, s82, 0xffffff                               // 0000000030D8: 8652FF52 00FFFFFF
	v_mul_lo_u32 v6, v5, s82                                   // 0000000030E0: D2850006 0000A505
	v_readlane_b32 s82, v3, 15                                 // 0000000030E8: D2890052 00011F03
	s_and_b32 s82, s82, 0xffffff                               // 0000000030F0: 8652FF52 00FFFFFF
	v_mul_lo_u32 v7, v4, s82                                   // 0000000030F8: D2850007 0000A504
	v_add_u32_e32 v57, v6, v7                                  // 000000003100: 68720F06
	v_mul_lo_u32 v57, v57, s68                                 // 000000003104: D2850039 00008939
	v_readlane_b32 s82, v3, 16                                 // 00000000310C: D2890052 00012103
	s_and_b32 s82, s82, 0xffffff                               // 000000003114: 8652FF52 00FFFFFF
	v_mul_lo_u32 v6, v5, s82                                   // 00000000311C: D2850006 0000A505
	v_readlane_b32 s82, v3, 17                                 // 000000003124: D2890052 00012303
	s_and_b32 s82, s82, 0xffffff                               // 00000000312C: 8652FF52 00FFFFFF
	v_mul_lo_u32 v7, v4, s82                                   // 000000003134: D2850007 0000A504
	v_add_u32_e32 v58, v6, v7                                  // 00000000313C: 68740F06
	v_mul_lo_u32 v58, v58, s68                                 // 000000003140: D285003A 0000893A
	v_readlane_b32 s82, v3, 18                                 // 000000003148: D2890052 00012503
	s_and_b32 s82, s82, 0xffffff                               // 000000003150: 8652FF52 00FFFFFF
	v_mul_lo_u32 v6, v5, s82                                   // 000000003158: D2850006 0000A505
	v_readlane_b32 s82, v3, 19                                 // 000000003160: D2890052 00012703
	s_and_b32 s82, s82, 0xffffff                               // 000000003168: 8652FF52 00FFFFFF
	v_mul_lo_u32 v7, v4, s82                                   // 000000003170: D2850007 0000A504
	v_add_u32_e32 v59, v6, v7                                  // 000000003178: 68760F06
	v_mul_lo_u32 v59, v59, s68                                 // 00000000317C: D285003B 0000893B
	v_and_b32_e32 v4, 31, v0                                   // 000000003184: 2608009F
	v_lshlrev_b32_e32 v4, 2, v4                                // 000000003188: 24080882
	v_add_u32_e32 v50, v50, v4                                 // 00000000318C: 68640932
	v_add_u32_e32 v51, v51, v4                                 // 000000003190: 68660933
	v_add_u32_e32 v52, v52, v4                                 // 000000003194: 68680934
	v_add_u32_e32 v53, v53, v4                                 // 000000003198: 686A0935
	v_add_u32_e32 v54, v54, v4                                 // 00000000319C: 686C0936
	v_add_u32_e32 v55, v55, v4                                 // 0000000031A0: 686E0937
	v_add_u32_e32 v56, v56, v4                                 // 0000000031A4: 68700938
	v_add_u32_e32 v57, v57, v4                                 // 0000000031A8: 68720939
	v_add_u32_e32 v58, v58, v4                                 // 0000000031AC: 6874093A
	v_add_u32_e32 v59, v59, v4                                 // 0000000031B0: 6876093B
	v_and_b32_e32 v30, 0xffffff, v30                           // 0000000031B4: 263C3CFF 00FFFFFF
	v_lshlrev_b32_e32 v30, 2, v30                              // 0000000031BC: 243C3C82
	v_and_b32_e32 v31, 0xffffff, v31                           // 0000000031C0: 263E3EFF 00FFFFFF
	v_lshlrev_b32_e32 v31, 2, v31                              // 0000000031C8: 243E3E82
	v_and_b32_e32 v32, 0xffffff, v32                           // 0000000031CC: 264040FF 00FFFFFF
	v_lshlrev_b32_e32 v32, 2, v32                              // 0000000031D4: 24404082
	v_and_b32_e32 v33, 0xffffff, v33                           // 0000000031D8: 264242FF 00FFFFFF
	v_lshlrev_b32_e32 v33, 2, v33                              // 0000000031E0: 24424282
	v_and_b32_e32 v34, 0xffffff, v34                           // 0000000031E4: 264444FF 00FFFFFF
	v_lshlrev_b32_e32 v34, 2, v34                              // 0000000031EC: 24444482
	s_lshl_b32 s3, s66, 2                                      // 0000000031F0: 8E038242
	buffer_load_dword v35, v30, s[28:31], 0 offen              // 0000000031F4: E0501000 8007231E
	buffer_load_dword v36, v31, s[28:31], 0 offen              // 0000000031FC: E0501000 8007241F
	buffer_load_dword v37, v32, s[28:31], 0 offen              // 000000003204: E0501000 80072520
	buffer_load_dword v38, v33, s[28:31], 0 offen              // 00000000320C: E0501000 80072621
	buffer_load_dword v39, v34, s[28:31], 0 offen              // 000000003214: E0501000 80072722
	buffer_load_dword v24, v22, s[32:35], 0 offen              // 00000000321C: E0501000 80081816
	s_mul_i32 s60, 4, s65                                      // 000000003224: 923C4184
	s_add_u32 s32, s60, s32                                    // 000000003228: 8020203C
	s_addc_u32 s33, 0, s33                                     // 00000000322C: 82212180
	buffer_load_dword v27, v22, s[32:35], 0 offen              // 000000003230: E0501000 80081B16
	buffer_load_dword v50, s[20:23], 0 offen lds               // 000000003238: E0511000 80050032
	s_add_u32 m0, 0x100, s48                                   // 000000003240: 807C30FF 00000100
	buffer_load_dword v51, s[20:23], 0 offen lds               // 000000003248: E0511000 80050033
	s_add_u32 m0, 0x200, s48                                   // 000000003250: 807C30FF 00000200
	;; [unrolled: 2-line block ×6, first 2 shown]
	buffer_load_dword v56, s[20:23], 0 offen lds               // 000000003298: E0511000 80050038
	s_add_u32 m0, 0x700, s48                                   // 0000000032A0: 807C30FF 00000700
	buffer_load_dword v57, s[20:23], 0 offen lds               // 0000000032A8: E0511000 80050039
	s_add_u32 m0, 0x800, s48                                   // 0000000032B0: 807C30FF 00000800
	buffer_load_dword v58, s[20:23], 0 offen lds               // 0000000032B8: E0511000 8005003A
	s_add_u32 m0, 0x900, s48                                   // 0000000032C0: 807C30FF 00000900
	buffer_load_dword v59, s[20:23], 0 offen lds               // 0000000032C8: E0511000 8005003B
	s_add_u32 m0, 0, s49                                       // 0000000032D0: 807C3180
	s_add_u32 s20, s57, s20                                    // 0000000032D4: 80141439
	s_addc_u32 s21, 0, s21                                     // 0000000032D8: 82151580
	buffer_load_dwordx4 a[80:83], v60, s[24:27], 0 offen       // 0000000032DC: E05C1000 8086503C
	buffer_load_dwordx4 a[84:87], v60, s[24:27], 0 offen offset:1024// 0000000032E4: E05C1400 8086543C
	s_add_u32 s24, s58, s24                                    // 0000000032EC: 8018183A
	s_addc_u32 s25, 0, s25                                     // 0000000032F0: 82191980
	buffer_load_dword v50, s[20:23], 0 offen lds               // 0000000032F4: E0511000 80050032
	s_add_u32 m0, 0x100, s49                                   // 0000000032FC: 807C31FF 00000100
	buffer_load_dword v51, s[20:23], 0 offen lds               // 000000003304: E0511000 80050033
	s_add_u32 m0, 0x200, s49                                   // 00000000330C: 807C31FF 00000200
	buffer_load_dword v52, s[20:23], 0 offen lds               // 000000003314: E0511000 80050034
	s_add_u32 m0, 0x300, s49                                   // 00000000331C: 807C31FF 00000300
	buffer_load_dword v53, s[20:23], 0 offen lds               // 000000003324: E0511000 80050035
	s_add_u32 m0, 0x400, s49                                   // 00000000332C: 807C31FF 00000400
	buffer_load_dword v54, s[20:23], 0 offen lds               // 000000003334: E0511000 80050036
	s_add_u32 m0, 0x500, s49                                   // 00000000333C: 807C31FF 00000500
	buffer_load_dword v55, s[20:23], 0 offen lds               // 000000003344: E0511000 80050037
	s_add_u32 m0, 0x600, s49                                   // 00000000334C: 807C31FF 00000600
	buffer_load_dword v56, s[20:23], 0 offen lds               // 000000003354: E0511000 80050038
	s_add_u32 m0, 0x700, s49                                   // 00000000335C: 807C31FF 00000700
	buffer_load_dword v57, s[20:23], 0 offen lds               // 000000003364: E0511000 80050039
	s_add_u32 m0, 0x800, s49                                   // 00000000336C: 807C31FF 00000800
	buffer_load_dword v58, s[20:23], 0 offen lds               // 000000003374: E0511000 8005003A
	s_add_u32 m0, 0x900, s49                                   // 00000000337C: 807C31FF 00000900
	buffer_load_dword v59, s[20:23], 0 offen lds               // 000000003384: E0511000 8005003B
	s_add_u32 m0, 0, s50                                       // 00000000338C: 807C3280
	s_add_u32 s20, s57, s20                                    // 000000003390: 80141439
	s_addc_u32 s21, 0, s21                                     // 000000003394: 82151580
	buffer_load_dwordx4 a[88:91], v60, s[84:87], 0 offen       // 000000003398: E05C1000 8095583C
	buffer_load_dwordx4 a[92:95], v60, s[84:87], 0 offen offset:1024// 0000000033A0: E05C1400 80955C3C
	s_add_u32 s84, s83, s84                                    // 0000000033A8: 80545453
	s_addc_u32 s85, 0, s85                                     // 0000000033AC: 82555580
	s_waitcnt vmcnt(14)                                        // 0000000033B0: BF8C0F7E
	s_barrier                                                  // 0000000033B4: BF8A0000
	ds_read_b128 a[0:3], v2                                    // 0000000033B8: DBFE0000 00000002
	ds_read_b128 a[4:7], v2 offset:64                          // 0000000033C0: DBFE0040 04000002
	ds_read_b128 a[8:11], v2 offset:512                        // 0000000033C8: DBFE0200 08000002
	ds_read_b128 a[12:15], v2 offset:576                       // 0000000033D0: DBFE0240 0C000002
	ds_read_b128 a[16:19], v2 offset:1024                      // 0000000033D8: DBFE0400 10000002
	ds_read_b128 a[20:23], v2 offset:1088                      // 0000000033E0: DBFE0440 14000002
	ds_read_b128 a[24:27], v2 offset:1536                      // 0000000033E8: DBFE0600 18000002
	ds_read_b128 a[28:31], v2 offset:1600                      // 0000000033F0: DBFE0640 1C000002
	ds_read_b128 a[32:35], v2 offset:2048                      // 0000000033F8: DBFE0800 20000002
	ds_read_b128 a[36:39], v2 offset:2112                      // 000000003400: DBFE0840 24000002
	s_cmp_lt_i32 s7, 2                                         // 000000003408: BF048207
	s_cbranch_scc0 label_0F1F                                  // 00000000340C: BF840C98

0000000000003410 <label_0284>:
	s_waitcnt vmcnt(12) lgkmcnt(0)                             // 000000003410: BF8C007C
	v_mfma_f32_16x16x32_fp8_fp8 v[64:67], a[80:81], a[0:1], v[64:67]// 000000003414: D3F30040 1D020150
	v_mfma_f32_16x16x32_fp8_fp8 v[64:67], a[82:83], a[2:3], v[64:67]// 00000000341C: D3F30040 1D020552
	buffer_load_dwordx4 a[96:99], v60, s[24:27], 0 offen       // 000000003424: E05C1000 8086603C
	v_mfma_f32_16x16x32_fp8_fp8 v[64:67], a[84:85], a[4:5], v[64:67]// 00000000342C: D3F30040 1D020954
	v_mfma_f32_16x16x32_fp8_fp8 v[64:67], a[86:87], a[6:7], v[64:67]// 000000003434: D3F30040 1D020D56
	v_mfma_f32_16x16x32_fp8_fp8 v[68:71], a[80:81], a[8:9], v[68:71]// 00000000343C: D3F30044 1D121150
	v_mfma_f32_16x16x32_fp8_fp8 v[68:71], a[82:83], a[10:11], v[68:71]// 000000003444: D3F30044 1D121552
	buffer_load_dwordx4 a[100:103], v60, s[24:27], 0 offen offset:1024// 00000000344C: E05C1400 8086643C
	buffer_load_dword v50, s[20:23], 0 offen lds               // 000000003454: E0511000 80050032
	s_add_u32 m0, 0x100, s50                                   // 00000000345C: 807C32FF 00000100
	v_mfma_f32_16x16x32_fp8_fp8 v[68:71], a[84:85], a[12:13], v[68:71]// 000000003464: D3F30044 1D121954
	v_mfma_f32_16x16x32_fp8_fp8 v[68:71], a[86:87], a[14:15], v[68:71]// 00000000346C: D3F30044 1D121D56
	buffer_load_dword v51, s[20:23], 0 offen lds               // 000000003474: E0511000 80050033
	s_add_u32 m0, 0x200, s50                                   // 00000000347C: 807C32FF 00000200
	v_mfma_f32_16x16x32_fp8_fp8 v[72:75], a[80:81], a[16:17], v[72:75]// 000000003484: D3F30048 1D222150
	v_mfma_f32_16x16x32_fp8_fp8 v[72:75], a[82:83], a[18:19], v[72:75]// 00000000348C: D3F30048 1D222552
	buffer_load_dword v52, s[20:23], 0 offen lds               // 000000003494: E0511000 80050034
	s_add_u32 m0, 0x300, s50                                   // 00000000349C: 807C32FF 00000300
	v_mfma_f32_16x16x32_fp8_fp8 v[72:75], a[84:85], a[20:21], v[72:75]// 0000000034A4: D3F30048 1D222954
	v_mfma_f32_16x16x32_fp8_fp8 v[72:75], a[86:87], a[22:23], v[72:75]// 0000000034AC: D3F30048 1D222D56
	buffer_load_dword v53, s[20:23], 0 offen lds               // 0000000034B4: E0511000 80050035
	s_add_u32 m0, 0x400, s50                                   // 0000000034BC: 807C32FF 00000400
	v_mfma_f32_16x16x32_fp8_fp8 v[76:79], a[80:81], a[24:25], v[76:79]// 0000000034C4: D3F3004C 1D323150
	v_mfma_f32_16x16x32_fp8_fp8 v[76:79], a[82:83], a[26:27], v[76:79]// 0000000034CC: D3F3004C 1D323552
	buffer_load_dword v54, s[20:23], 0 offen lds               // 0000000034D4: E0511000 80050036
	s_add_u32 m0, 0x500, s50                                   // 0000000034DC: 807C32FF 00000500
	v_mfma_f32_16x16x32_fp8_fp8 v[76:79], a[84:85], a[28:29], v[76:79]// 0000000034E4: D3F3004C 1D323954
	v_mfma_f32_16x16x32_fp8_fp8 v[76:79], a[86:87], a[30:31], v[76:79]// 0000000034EC: D3F3004C 1D323D56
	buffer_load_dword v55, s[20:23], 0 offen lds               // 0000000034F4: E0511000 80050037
	s_add_u32 m0, 0x600, s50                                   // 0000000034FC: 807C32FF 00000600
	v_mfma_f32_16x16x32_fp8_fp8 v[80:83], a[80:81], a[32:33], v[80:83]// 000000003504: D3F30050 1D424150
	v_mfma_f32_16x16x32_fp8_fp8 v[80:83], a[82:83], a[34:35], v[80:83]// 00000000350C: D3F30050 1D424552
	buffer_load_dword v56, s[20:23], 0 offen lds               // 000000003514: E0511000 80050038
	s_add_u32 m0, 0x700, s50                                   // 00000000351C: 807C32FF 00000700
	v_mfma_f32_16x16x32_fp8_fp8 v[80:83], a[84:85], a[36:37], v[80:83]// 000000003524: D3F30050 1D424954
	v_mfma_f32_16x16x32_fp8_fp8 v[80:83], a[86:87], a[38:39], v[80:83]// 00000000352C: D3F30050 1D424D56
	buffer_load_dword v57, s[20:23], 0 offen lds               // 000000003534: E0511000 80050039
	s_add_u32 m0, 0x800, s50                                   // 00000000353C: 807C32FF 00000800
	buffer_load_dword v58, s[20:23], 0 offen lds               // 000000003544: E0511000 8005003A
	s_add_u32 m0, 0x900, s50                                   // 00000000354C: 807C32FF 00000900
	buffer_load_dword v59, s[20:23], 0 offen lds               // 000000003554: E0511000 8005003B
	s_add_u32 m0, 0, s48                                       // 00000000355C: 807C3080
	s_waitcnt vmcnt(12)                                        // 000000003560: BF8C0F7C
	s_barrier                                                  // 000000003564: BF8A0000
	v_mfma_f32_16x16x32_fp8_fp8 v[84:87], a[88:89], a[0:1], v[84:87]// 000000003568: D3F30054 1D520158
	v_mfma_f32_16x16x32_fp8_fp8 v[84:87], a[90:91], a[2:3], v[84:87]// 000000003570: D3F30054 1D52055A
	buffer_load_dwordx4 a[80:83], v60, s[84:87], 0 offen       // 000000003578: E05C1000 8095503C
	v_mfma_f32_16x16x32_fp8_fp8 v[84:87], a[92:93], a[4:5], v[84:87]// 000000003580: D3F30054 1D52095C
	v_mfma_f32_16x16x32_fp8_fp8 v[84:87], a[94:95], a[6:7], v[84:87]// 000000003588: D3F30054 1D520D5E
	ds_read_b128 a[40:43], v2 offset:10368                     // 000000003590: DBFE2880 28000002
	ds_read_b128 a[44:47], v2 offset:10432                     // 000000003598: DBFE28C0 2C000002
	v_mfma_f32_16x16x32_fp8_fp8 v[88:91], a[88:89], a[8:9], v[88:91]// 0000000035A0: D3F30058 1D621158
	v_mfma_f32_16x16x32_fp8_fp8 v[88:91], a[90:91], a[10:11], v[88:91]// 0000000035A8: D3F30058 1D62155A
	buffer_load_dwordx4 a[84:87], v60, s[84:87], 0 offen offset:1024// 0000000035B0: E05C1400 8095543C
	v_mfma_f32_16x16x32_fp8_fp8 v[88:91], a[92:93], a[12:13], v[88:91]// 0000000035B8: D3F30058 1D62195C
	v_mfma_f32_16x16x32_fp8_fp8 v[88:91], a[94:95], a[14:15], v[88:91]// 0000000035C0: D3F30058 1D621D5E
	ds_read_b128 a[48:51], v2 offset:10880                     // 0000000035C8: DBFE2A80 30000002
	ds_read_b128 a[52:55], v2 offset:10944                     // 0000000035D0: DBFE2AC0 34000002
	v_mfma_f32_16x16x32_fp8_fp8 v[92:95], a[88:89], a[16:17], v[92:95]// 0000000035D8: D3F3005C 1D722158
	v_mfma_f32_16x16x32_fp8_fp8 v[92:95], a[90:91], a[18:19], v[92:95]// 0000000035E0: D3F3005C 1D72255A
	v_mfma_f32_16x16x32_fp8_fp8 v[92:95], a[92:93], a[20:21], v[92:95]// 0000000035E8: D3F3005C 1D72295C
	v_mfma_f32_16x16x32_fp8_fp8 v[92:95], a[94:95], a[22:23], v[92:95]// 0000000035F0: D3F3005C 1D722D5E
	ds_read_b128 a[56:59], v2 offset:11392                     // 0000000035F8: DBFE2C80 38000002
	ds_read_b128 a[60:63], v2 offset:11456                     // 000000003600: DBFE2CC0 3C000002
	v_mfma_f32_16x16x32_fp8_fp8 v[96:99], a[88:89], a[24:25], v[96:99]// 000000003608: D3F30060 1D823158
	s_add_u32 s60, 0x180, s80                                  // 000000003610: 803C50FF 00000180
	s_cmp_lt_u32 s60, s81                                      // 000000003618: BF0A513C
	s_cselect_b32 s57, s57, 0                                  // 00000000361C: 85398039
	v_mfma_f32_16x16x32_fp8_fp8 v[96:99], a[90:91], a[26:27], v[96:99]// 000000003620: D3F30060 1D82355A
	s_add_u32 s60, 0x100, s80                                  // 000000003628: 803C50FF 00000100
	s_cmp_lt_u32 s60, s81                                      // 000000003630: BF0A513C
	s_cselect_b32 s58, s58, 0                                  // 000000003634: 853A803A
	v_mfma_f32_16x16x32_fp8_fp8 v[96:99], a[92:93], a[28:29], v[96:99]// 000000003638: D3F30060 1D82395C
	s_add_u32 s60, 0x100, s80                                  // 000000003640: 803C50FF 00000100
	s_cmp_lt_u32 s60, s81                                      // 000000003648: BF0A513C
	s_cselect_b32 s83, s83, 0                                  // 00000000364C: 85538053
	v_mfma_f32_16x16x32_fp8_fp8 v[96:99], a[94:95], a[30:31], v[96:99]// 000000003650: D3F30060 1D823D5E
	ds_read_b128 a[64:67], v2 offset:11904                     // 000000003658: DBFE2E80 40000002
	ds_read_b128 a[68:71], v2 offset:11968                     // 000000003660: DBFE2EC0 44000002
	s_add_u32 s24, s58, s24                                    // 000000003668: 8018183A
	s_addc_u32 s25, 0, s25                                     // 00000000366C: 82191980
	v_mfma_f32_16x16x32_fp8_fp8 v[100:103], a[88:89], a[32:33], v[100:103]// 000000003670: D3F30064 1D924158
	s_add_u32 s20, s57, s20                                    // 000000003678: 80141439
	s_addc_u32 s21, 0, s21                                     // 00000000367C: 82151580
	v_mfma_f32_16x16x32_fp8_fp8 v[100:103], a[90:91], a[34:35], v[100:103]// 000000003680: D3F30064 1D92455A
	s_add_u32 s84, s83, s84                                    // 000000003688: 80545453
	s_addc_u32 s85, 0, s85                                     // 00000000368C: 82555580
	v_mfma_f32_16x16x32_fp8_fp8 v[100:103], a[92:93], a[36:37], v[100:103]// 000000003690: D3F30064 1D92495C
	v_mfma_f32_16x16x32_fp8_fp8 v[100:103], a[94:95], a[38:39], v[100:103]// 000000003698: D3F30064 1D924D5E
	ds_read_b128 a[72:75], v2 offset:12416                     // 0000000036A0: DBFE3080 48000002
	ds_read_b128 a[76:79], v2 offset:12480                     // 0000000036A8: DBFE30C0 4C000002
	s_addk_i32 s80, 0x80                                       // 0000000036B0: B7500080
	s_cmp_lt_i32 s80, s81                                      // 0000000036B4: BF045150
	s_cbranch_scc0 label_0687                                  // 0000000036B8: BF840358
	s_waitcnt vmcnt(12) lgkmcnt(0)                             // 0000000036BC: BF8C007C
	v_mfma_f32_16x16x32_fp8_fp8 v[64:67], a[96:97], a[40:41], v[64:67]// 0000000036C0: D3F30040 1D025160
	v_mfma_f32_16x16x32_fp8_fp8 v[64:67], a[98:99], a[42:43], v[64:67]// 0000000036C8: D3F30040 1D025562
	buffer_load_dwordx4 a[88:91], v60, s[24:27], 0 offen       // 0000000036D0: E05C1000 8086583C
	v_mfma_f32_16x16x32_fp8_fp8 v[64:67], a[100:101], a[44:45], v[64:67]// 0000000036D8: D3F30040 1D025964
	v_mfma_f32_16x16x32_fp8_fp8 v[64:67], a[102:103], a[46:47], v[64:67]// 0000000036E0: D3F30040 1D025D66
	v_mfma_f32_16x16x32_fp8_fp8 v[68:71], a[96:97], a[48:49], v[68:71]// 0000000036E8: D3F30044 1D126160
	v_mfma_f32_16x16x32_fp8_fp8 v[68:71], a[98:99], a[50:51], v[68:71]// 0000000036F0: D3F30044 1D126562
	buffer_load_dwordx4 a[92:95], v60, s[24:27], 0 offen offset:1024// 0000000036F8: E05C1400 80865C3C
	buffer_load_dword v50, s[20:23], 0 offen lds               // 000000003700: E0511000 80050032
	s_add_u32 m0, 0x100, s48                                   // 000000003708: 807C30FF 00000100
	v_mfma_f32_16x16x32_fp8_fp8 v[68:71], a[100:101], a[52:53], v[68:71]// 000000003710: D3F30044 1D126964
	v_mfma_f32_16x16x32_fp8_fp8 v[68:71], a[102:103], a[54:55], v[68:71]// 000000003718: D3F30044 1D126D66
	buffer_load_dword v51, s[20:23], 0 offen lds               // 000000003720: E0511000 80050033
	s_add_u32 m0, 0x200, s48                                   // 000000003728: 807C30FF 00000200
	v_mfma_f32_16x16x32_fp8_fp8 v[72:75], a[96:97], a[56:57], v[72:75]// 000000003730: D3F30048 1D227160
	v_mfma_f32_16x16x32_fp8_fp8 v[72:75], a[98:99], a[58:59], v[72:75]// 000000003738: D3F30048 1D227562
	buffer_load_dword v52, s[20:23], 0 offen lds               // 000000003740: E0511000 80050034
	s_add_u32 m0, 0x300, s48                                   // 000000003748: 807C30FF 00000300
	v_mfma_f32_16x16x32_fp8_fp8 v[72:75], a[100:101], a[60:61], v[72:75]// 000000003750: D3F30048 1D227964
	v_mfma_f32_16x16x32_fp8_fp8 v[72:75], a[102:103], a[62:63], v[72:75]// 000000003758: D3F30048 1D227D66
	buffer_load_dword v53, s[20:23], 0 offen lds               // 000000003760: E0511000 80050035
	s_add_u32 m0, 0x400, s48                                   // 000000003768: 807C30FF 00000400
	v_mfma_f32_16x16x32_fp8_fp8 v[76:79], a[96:97], a[64:65], v[76:79]// 000000003770: D3F3004C 1D328160
	v_mfma_f32_16x16x32_fp8_fp8 v[76:79], a[98:99], a[66:67], v[76:79]// 000000003778: D3F3004C 1D328562
	buffer_load_dword v54, s[20:23], 0 offen lds               // 000000003780: E0511000 80050036
	s_add_u32 m0, 0x500, s48                                   // 000000003788: 807C30FF 00000500
	v_mfma_f32_16x16x32_fp8_fp8 v[76:79], a[100:101], a[68:69], v[76:79]// 000000003790: D3F3004C 1D328964
	v_mfma_f32_16x16x32_fp8_fp8 v[76:79], a[102:103], a[70:71], v[76:79]// 000000003798: D3F3004C 1D328D66
	buffer_load_dword v55, s[20:23], 0 offen lds               // 0000000037A0: E0511000 80050037
	s_add_u32 m0, 0x600, s48                                   // 0000000037A8: 807C30FF 00000600
	v_mfma_f32_16x16x32_fp8_fp8 v[80:83], a[96:97], a[72:73], v[80:83]// 0000000037B0: D3F30050 1D429160
	v_mfma_f32_16x16x32_fp8_fp8 v[80:83], a[98:99], a[74:75], v[80:83]// 0000000037B8: D3F30050 1D429562
	buffer_load_dword v56, s[20:23], 0 offen lds               // 0000000037C0: E0511000 80050038
	s_add_u32 m0, 0x700, s48                                   // 0000000037C8: 807C30FF 00000700
	v_mfma_f32_16x16x32_fp8_fp8 v[80:83], a[100:101], a[76:77], v[80:83]// 0000000037D0: D3F30050 1D429964
	v_mfma_f32_16x16x32_fp8_fp8 v[80:83], a[102:103], a[78:79], v[80:83]// 0000000037D8: D3F30050 1D429D66
	buffer_load_dword v57, s[20:23], 0 offen lds               // 0000000037E0: E0511000 80050039
	s_add_u32 m0, 0x800, s48                                   // 0000000037E8: 807C30FF 00000800
	buffer_load_dword v58, s[20:23], 0 offen lds               // 0000000037F0: E0511000 8005003A
	s_add_u32 m0, 0x900, s48                                   // 0000000037F8: 807C30FF 00000900
	buffer_load_dword v59, s[20:23], 0 offen lds               // 000000003800: E0511000 8005003B
	s_add_u32 m0, 0, s49                                       // 000000003808: 807C3180
	s_waitcnt vmcnt(12)                                        // 00000000380C: BF8C0F7C
	s_barrier                                                  // 000000003810: BF8A0000
	v_mfma_f32_16x16x32_fp8_fp8 v[84:87], a[80:81], a[40:41], v[84:87]// 000000003814: D3F30054 1D525150
	v_mfma_f32_16x16x32_fp8_fp8 v[84:87], a[82:83], a[42:43], v[84:87]// 00000000381C: D3F30054 1D525552
	buffer_load_dwordx4 a[96:99], v60, s[84:87], 0 offen       // 000000003824: E05C1000 8095603C
	v_mfma_f32_16x16x32_fp8_fp8 v[84:87], a[84:85], a[44:45], v[84:87]// 00000000382C: D3F30054 1D525954
	v_mfma_f32_16x16x32_fp8_fp8 v[84:87], a[86:87], a[46:47], v[84:87]// 000000003834: D3F30054 1D525D56
	ds_read_b128 a[0:3], v2 offset:20736                       // 00000000383C: DBFE5100 00000002
	ds_read_b128 a[4:7], v2 offset:20800                       // 000000003844: DBFE5140 04000002
	v_mfma_f32_16x16x32_fp8_fp8 v[88:91], a[80:81], a[48:49], v[88:91]// 00000000384C: D3F30058 1D626150
	v_mfma_f32_16x16x32_fp8_fp8 v[88:91], a[82:83], a[50:51], v[88:91]// 000000003854: D3F30058 1D626552
	buffer_load_dwordx4 a[100:103], v60, s[84:87], 0 offen offset:1024// 00000000385C: E05C1400 8095643C
	v_mfma_f32_16x16x32_fp8_fp8 v[88:91], a[84:85], a[52:53], v[88:91]// 000000003864: D3F30058 1D626954
	v_mfma_f32_16x16x32_fp8_fp8 v[88:91], a[86:87], a[54:55], v[88:91]// 00000000386C: D3F30058 1D626D56
	ds_read_b128 a[8:11], v2 offset:21248                      // 000000003874: DBFE5300 08000002
	ds_read_b128 a[12:15], v2 offset:21312                     // 00000000387C: DBFE5340 0C000002
	v_mfma_f32_16x16x32_fp8_fp8 v[92:95], a[80:81], a[56:57], v[92:95]// 000000003884: D3F3005C 1D727150
	v_mfma_f32_16x16x32_fp8_fp8 v[92:95], a[82:83], a[58:59], v[92:95]// 00000000388C: D3F3005C 1D727552
	v_mfma_f32_16x16x32_fp8_fp8 v[92:95], a[84:85], a[60:61], v[92:95]// 000000003894: D3F3005C 1D727954
	v_mfma_f32_16x16x32_fp8_fp8 v[92:95], a[86:87], a[62:63], v[92:95]// 00000000389C: D3F3005C 1D727D56
	ds_read_b128 a[16:19], v2 offset:21760                     // 0000000038A4: DBFE5500 10000002
	ds_read_b128 a[20:23], v2 offset:21824                     // 0000000038AC: DBFE5540 14000002
	v_mfma_f32_16x16x32_fp8_fp8 v[96:99], a[80:81], a[64:65], v[96:99]// 0000000038B4: D3F30060 1D828150
	s_add_u32 s60, 0x180, s80                                  // 0000000038BC: 803C50FF 00000180
	s_cmp_lt_u32 s60, s81                                      // 0000000038C4: BF0A513C
	s_cselect_b32 s57, s57, 0                                  // 0000000038C8: 85398039
	v_mfma_f32_16x16x32_fp8_fp8 v[96:99], a[82:83], a[66:67], v[96:99]// 0000000038CC: D3F30060 1D828552
	s_add_u32 s60, 0x100, s80                                  // 0000000038D4: 803C50FF 00000100
	s_cmp_lt_u32 s60, s81                                      // 0000000038DC: BF0A513C
	s_cselect_b32 s58, s58, 0                                  // 0000000038E0: 853A803A
	v_mfma_f32_16x16x32_fp8_fp8 v[96:99], a[84:85], a[68:69], v[96:99]// 0000000038E4: D3F30060 1D828954
	s_add_u32 s60, 0x100, s80                                  // 0000000038EC: 803C50FF 00000100
	s_cmp_lt_u32 s60, s81                                      // 0000000038F4: BF0A513C
	s_cselect_b32 s83, s83, 0                                  // 0000000038F8: 85538053
	v_mfma_f32_16x16x32_fp8_fp8 v[96:99], a[86:87], a[70:71], v[96:99]// 0000000038FC: D3F30060 1D828D56
	ds_read_b128 a[24:27], v2 offset:22272                     // 000000003904: DBFE5700 18000002
	ds_read_b128 a[28:31], v2 offset:22336                     // 00000000390C: DBFE5740 1C000002
	s_add_u32 s24, s58, s24                                    // 000000003914: 8018183A
	s_addc_u32 s25, 0, s25                                     // 000000003918: 82191980
	v_mfma_f32_16x16x32_fp8_fp8 v[100:103], a[80:81], a[72:73], v[100:103]// 00000000391C: D3F30064 1D929150
	s_add_u32 s20, s57, s20                                    // 000000003924: 80141439
	s_addc_u32 s21, 0, s21                                     // 000000003928: 82151580
	v_mfma_f32_16x16x32_fp8_fp8 v[100:103], a[82:83], a[74:75], v[100:103]// 00000000392C: D3F30064 1D929552
	s_add_u32 s84, s83, s84                                    // 000000003934: 80545453
	s_addc_u32 s85, 0, s85                                     // 000000003938: 82555580
	v_mfma_f32_16x16x32_fp8_fp8 v[100:103], a[84:85], a[76:77], v[100:103]// 00000000393C: D3F30064 1D929954
	v_mfma_f32_16x16x32_fp8_fp8 v[100:103], a[86:87], a[78:79], v[100:103]// 000000003944: D3F30064 1D929D56
	ds_read_b128 a[32:35], v2 offset:22784                     // 00000000394C: DBFE5900 20000002
	ds_read_b128 a[36:39], v2 offset:22848                     // 000000003954: DBFE5940 24000002
	s_addk_i32 s80, 0x80                                       // 00000000395C: B7500080
	s_cmp_lt_i32 s80, s81                                      // 000000003960: BF045150
	s_cbranch_scc0 label_0687                                  // 000000003964: BF8402AD
	s_waitcnt vmcnt(12) lgkmcnt(0)                             // 000000003968: BF8C007C
	v_mfma_f32_16x16x32_fp8_fp8 v[64:67], a[88:89], a[0:1], v[64:67]// 00000000396C: D3F30040 1D020158
	v_mfma_f32_16x16x32_fp8_fp8 v[64:67], a[90:91], a[2:3], v[64:67]// 000000003974: D3F30040 1D02055A
	buffer_load_dwordx4 a[80:83], v60, s[24:27], 0 offen       // 00000000397C: E05C1000 8086503C
	v_mfma_f32_16x16x32_fp8_fp8 v[64:67], a[92:93], a[4:5], v[64:67]// 000000003984: D3F30040 1D02095C
	v_mfma_f32_16x16x32_fp8_fp8 v[64:67], a[94:95], a[6:7], v[64:67]// 00000000398C: D3F30040 1D020D5E
	v_mfma_f32_16x16x32_fp8_fp8 v[68:71], a[88:89], a[8:9], v[68:71]// 000000003994: D3F30044 1D121158
	v_mfma_f32_16x16x32_fp8_fp8 v[68:71], a[90:91], a[10:11], v[68:71]// 00000000399C: D3F30044 1D12155A
	buffer_load_dwordx4 a[84:87], v60, s[24:27], 0 offen offset:1024// 0000000039A4: E05C1400 8086543C
	buffer_load_dword v50, s[20:23], 0 offen lds               // 0000000039AC: E0511000 80050032
	s_add_u32 m0, 0x100, s49                                   // 0000000039B4: 807C31FF 00000100
	v_mfma_f32_16x16x32_fp8_fp8 v[68:71], a[92:93], a[12:13], v[68:71]// 0000000039BC: D3F30044 1D12195C
	v_mfma_f32_16x16x32_fp8_fp8 v[68:71], a[94:95], a[14:15], v[68:71]// 0000000039C4: D3F30044 1D121D5E
	buffer_load_dword v51, s[20:23], 0 offen lds               // 0000000039CC: E0511000 80050033
	s_add_u32 m0, 0x200, s49                                   // 0000000039D4: 807C31FF 00000200
	v_mfma_f32_16x16x32_fp8_fp8 v[72:75], a[88:89], a[16:17], v[72:75]// 0000000039DC: D3F30048 1D222158
	v_mfma_f32_16x16x32_fp8_fp8 v[72:75], a[90:91], a[18:19], v[72:75]// 0000000039E4: D3F30048 1D22255A
	buffer_load_dword v52, s[20:23], 0 offen lds               // 0000000039EC: E0511000 80050034
	s_add_u32 m0, 0x300, s49                                   // 0000000039F4: 807C31FF 00000300
	v_mfma_f32_16x16x32_fp8_fp8 v[72:75], a[92:93], a[20:21], v[72:75]// 0000000039FC: D3F30048 1D22295C
	v_mfma_f32_16x16x32_fp8_fp8 v[72:75], a[94:95], a[22:23], v[72:75]// 000000003A04: D3F30048 1D222D5E
	buffer_load_dword v53, s[20:23], 0 offen lds               // 000000003A0C: E0511000 80050035
	s_add_u32 m0, 0x400, s49                                   // 000000003A14: 807C31FF 00000400
	v_mfma_f32_16x16x32_fp8_fp8 v[76:79], a[88:89], a[24:25], v[76:79]// 000000003A1C: D3F3004C 1D323158
	v_mfma_f32_16x16x32_fp8_fp8 v[76:79], a[90:91], a[26:27], v[76:79]// 000000003A24: D3F3004C 1D32355A
	buffer_load_dword v54, s[20:23], 0 offen lds               // 000000003A2C: E0511000 80050036
	s_add_u32 m0, 0x500, s49                                   // 000000003A34: 807C31FF 00000500
	v_mfma_f32_16x16x32_fp8_fp8 v[76:79], a[92:93], a[28:29], v[76:79]// 000000003A3C: D3F3004C 1D32395C
	v_mfma_f32_16x16x32_fp8_fp8 v[76:79], a[94:95], a[30:31], v[76:79]// 000000003A44: D3F3004C 1D323D5E
	buffer_load_dword v55, s[20:23], 0 offen lds               // 000000003A4C: E0511000 80050037
	s_add_u32 m0, 0x600, s49                                   // 000000003A54: 807C31FF 00000600
	v_mfma_f32_16x16x32_fp8_fp8 v[80:83], a[88:89], a[32:33], v[80:83]// 000000003A5C: D3F30050 1D424158
	v_mfma_f32_16x16x32_fp8_fp8 v[80:83], a[90:91], a[34:35], v[80:83]// 000000003A64: D3F30050 1D42455A
	buffer_load_dword v56, s[20:23], 0 offen lds               // 000000003A6C: E0511000 80050038
	s_add_u32 m0, 0x700, s49                                   // 000000003A74: 807C31FF 00000700
	v_mfma_f32_16x16x32_fp8_fp8 v[80:83], a[92:93], a[36:37], v[80:83]// 000000003A7C: D3F30050 1D42495C
	v_mfma_f32_16x16x32_fp8_fp8 v[80:83], a[94:95], a[38:39], v[80:83]// 000000003A84: D3F30050 1D424D5E
	buffer_load_dword v57, s[20:23], 0 offen lds               // 000000003A8C: E0511000 80050039
	s_add_u32 m0, 0x800, s49                                   // 000000003A94: 807C31FF 00000800
	buffer_load_dword v58, s[20:23], 0 offen lds               // 000000003A9C: E0511000 8005003A
	s_add_u32 m0, 0x900, s49                                   // 000000003AA4: 807C31FF 00000900
	buffer_load_dword v59, s[20:23], 0 offen lds               // 000000003AAC: E0511000 8005003B
	s_add_u32 m0, 0, s50                                       // 000000003AB4: 807C3280
	s_waitcnt vmcnt(12)                                        // 000000003AB8: BF8C0F7C
	s_barrier                                                  // 000000003ABC: BF8A0000
	v_mfma_f32_16x16x32_fp8_fp8 v[84:87], a[96:97], a[0:1], v[84:87]// 000000003AC0: D3F30054 1D520160
	v_mfma_f32_16x16x32_fp8_fp8 v[84:87], a[98:99], a[2:3], v[84:87]// 000000003AC8: D3F30054 1D520562
	buffer_load_dwordx4 a[88:91], v60, s[84:87], 0 offen       // 000000003AD0: E05C1000 8095583C
	v_mfma_f32_16x16x32_fp8_fp8 v[84:87], a[100:101], a[4:5], v[84:87]// 000000003AD8: D3F30054 1D520964
	v_mfma_f32_16x16x32_fp8_fp8 v[84:87], a[102:103], a[6:7], v[84:87]// 000000003AE0: D3F30054 1D520D66
	ds_read_b128 a[40:43], v2                                  // 000000003AE8: DBFE0000 28000002
	ds_read_b128 a[44:47], v2 offset:64                        // 000000003AF0: DBFE0040 2C000002
	v_mfma_f32_16x16x32_fp8_fp8 v[88:91], a[96:97], a[8:9], v[88:91]// 000000003AF8: D3F30058 1D621160
	v_mfma_f32_16x16x32_fp8_fp8 v[88:91], a[98:99], a[10:11], v[88:91]// 000000003B00: D3F30058 1D621562
	buffer_load_dwordx4 a[92:95], v60, s[84:87], 0 offen offset:1024// 000000003B08: E05C1400 80955C3C
	v_mfma_f32_16x16x32_fp8_fp8 v[88:91], a[100:101], a[12:13], v[88:91]// 000000003B10: D3F30058 1D621964
	v_mfma_f32_16x16x32_fp8_fp8 v[88:91], a[102:103], a[14:15], v[88:91]// 000000003B18: D3F30058 1D621D66
	ds_read_b128 a[48:51], v2 offset:512                       // 000000003B20: DBFE0200 30000002
	ds_read_b128 a[52:55], v2 offset:576                       // 000000003B28: DBFE0240 34000002
	v_mfma_f32_16x16x32_fp8_fp8 v[92:95], a[96:97], a[16:17], v[92:95]// 000000003B30: D3F3005C 1D722160
	v_mfma_f32_16x16x32_fp8_fp8 v[92:95], a[98:99], a[18:19], v[92:95]// 000000003B38: D3F3005C 1D722562
	v_mfma_f32_16x16x32_fp8_fp8 v[92:95], a[100:101], a[20:21], v[92:95]// 000000003B40: D3F3005C 1D722964
	v_mfma_f32_16x16x32_fp8_fp8 v[92:95], a[102:103], a[22:23], v[92:95]// 000000003B48: D3F3005C 1D722D66
	ds_read_b128 a[56:59], v2 offset:1024                      // 000000003B50: DBFE0400 38000002
	ds_read_b128 a[60:63], v2 offset:1088                      // 000000003B58: DBFE0440 3C000002
	v_mfma_f32_16x16x32_fp8_fp8 v[96:99], a[96:97], a[24:25], v[96:99]// 000000003B60: D3F30060 1D823160
	s_add_u32 s60, 0x180, s80                                  // 000000003B68: 803C50FF 00000180
	s_cmp_lt_u32 s60, s81                                      // 000000003B70: BF0A513C
	s_cselect_b32 s57, s57, 0                                  // 000000003B74: 85398039
	v_mfma_f32_16x16x32_fp8_fp8 v[96:99], a[98:99], a[26:27], v[96:99]// 000000003B78: D3F30060 1D823562
	s_add_u32 s60, 0x100, s80                                  // 000000003B80: 803C50FF 00000100
	s_cmp_lt_u32 s60, s81                                      // 000000003B88: BF0A513C
	s_cselect_b32 s58, s58, 0                                  // 000000003B8C: 853A803A
	v_mfma_f32_16x16x32_fp8_fp8 v[96:99], a[100:101], a[28:29], v[96:99]// 000000003B90: D3F30060 1D823964
	s_add_u32 s60, 0x100, s80                                  // 000000003B98: 803C50FF 00000100
	s_cmp_lt_u32 s60, s81                                      // 000000003BA0: BF0A513C
	s_cselect_b32 s83, s83, 0                                  // 000000003BA4: 85538053
	v_mfma_f32_16x16x32_fp8_fp8 v[96:99], a[102:103], a[30:31], v[96:99]// 000000003BA8: D3F30060 1D823D66
	ds_read_b128 a[64:67], v2 offset:1536                      // 000000003BB0: DBFE0600 40000002
	ds_read_b128 a[68:71], v2 offset:1600                      // 000000003BB8: DBFE0640 44000002
	s_add_u32 s24, s58, s24                                    // 000000003BC0: 8018183A
	s_addc_u32 s25, 0, s25                                     // 000000003BC4: 82191980
	v_mfma_f32_16x16x32_fp8_fp8 v[100:103], a[96:97], a[32:33], v[100:103]// 000000003BC8: D3F30064 1D924160
	s_add_u32 s20, s57, s20                                    // 000000003BD0: 80141439
	s_addc_u32 s21, 0, s21                                     // 000000003BD4: 82151580
	v_mfma_f32_16x16x32_fp8_fp8 v[100:103], a[98:99], a[34:35], v[100:103]// 000000003BD8: D3F30064 1D924562
	s_add_u32 s84, s83, s84                                    // 000000003BE0: 80545453
	s_addc_u32 s85, 0, s85                                     // 000000003BE4: 82555580
	v_mfma_f32_16x16x32_fp8_fp8 v[100:103], a[100:101], a[36:37], v[100:103]// 000000003BE8: D3F30064 1D924964
	v_mfma_f32_16x16x32_fp8_fp8 v[100:103], a[102:103], a[38:39], v[100:103]// 000000003BF0: D3F30064 1D924D66
	ds_read_b128 a[72:75], v2 offset:2048                      // 000000003BF8: DBFE0800 48000002
	ds_read_b128 a[76:79], v2 offset:2112                      // 000000003C00: DBFE0840 4C000002
	s_addk_i32 s80, 0x80                                       // 000000003C08: B7500080
	s_cmp_lt_i32 s80, s81                                      // 000000003C0C: BF045150
	s_cbranch_scc0 label_0687                                  // 000000003C10: BF840202
	s_waitcnt vmcnt(12) lgkmcnt(0)                             // 000000003C14: BF8C007C
	v_mfma_f32_16x16x32_fp8_fp8 v[64:67], a[80:81], a[40:41], v[64:67]// 000000003C18: D3F30040 1D025150
	v_mfma_f32_16x16x32_fp8_fp8 v[64:67], a[82:83], a[42:43], v[64:67]// 000000003C20: D3F30040 1D025552
	buffer_load_dwordx4 a[96:99], v60, s[24:27], 0 offen       // 000000003C28: E05C1000 8086603C
	v_mfma_f32_16x16x32_fp8_fp8 v[64:67], a[84:85], a[44:45], v[64:67]// 000000003C30: D3F30040 1D025954
	v_mfma_f32_16x16x32_fp8_fp8 v[64:67], a[86:87], a[46:47], v[64:67]// 000000003C38: D3F30040 1D025D56
	v_mfma_f32_16x16x32_fp8_fp8 v[68:71], a[80:81], a[48:49], v[68:71]// 000000003C40: D3F30044 1D126150
	v_mfma_f32_16x16x32_fp8_fp8 v[68:71], a[82:83], a[50:51], v[68:71]// 000000003C48: D3F30044 1D126552
	buffer_load_dwordx4 a[100:103], v60, s[24:27], 0 offen offset:1024// 000000003C50: E05C1400 8086643C
	buffer_load_dword v50, s[20:23], 0 offen lds               // 000000003C58: E0511000 80050032
	s_add_u32 m0, 0x100, s50                                   // 000000003C60: 807C32FF 00000100
	v_mfma_f32_16x16x32_fp8_fp8 v[68:71], a[84:85], a[52:53], v[68:71]// 000000003C68: D3F30044 1D126954
	v_mfma_f32_16x16x32_fp8_fp8 v[68:71], a[86:87], a[54:55], v[68:71]// 000000003C70: D3F30044 1D126D56
	buffer_load_dword v51, s[20:23], 0 offen lds               // 000000003C78: E0511000 80050033
	s_add_u32 m0, 0x200, s50                                   // 000000003C80: 807C32FF 00000200
	v_mfma_f32_16x16x32_fp8_fp8 v[72:75], a[80:81], a[56:57], v[72:75]// 000000003C88: D3F30048 1D227150
	v_mfma_f32_16x16x32_fp8_fp8 v[72:75], a[82:83], a[58:59], v[72:75]// 000000003C90: D3F30048 1D227552
	buffer_load_dword v52, s[20:23], 0 offen lds               // 000000003C98: E0511000 80050034
	s_add_u32 m0, 0x300, s50                                   // 000000003CA0: 807C32FF 00000300
	v_mfma_f32_16x16x32_fp8_fp8 v[72:75], a[84:85], a[60:61], v[72:75]// 000000003CA8: D3F30048 1D227954
	v_mfma_f32_16x16x32_fp8_fp8 v[72:75], a[86:87], a[62:63], v[72:75]// 000000003CB0: D3F30048 1D227D56
	buffer_load_dword v53, s[20:23], 0 offen lds               // 000000003CB8: E0511000 80050035
	s_add_u32 m0, 0x400, s50                                   // 000000003CC0: 807C32FF 00000400
	v_mfma_f32_16x16x32_fp8_fp8 v[76:79], a[80:81], a[64:65], v[76:79]// 000000003CC8: D3F3004C 1D328150
	v_mfma_f32_16x16x32_fp8_fp8 v[76:79], a[82:83], a[66:67], v[76:79]// 000000003CD0: D3F3004C 1D328552
	buffer_load_dword v54, s[20:23], 0 offen lds               // 000000003CD8: E0511000 80050036
	s_add_u32 m0, 0x500, s50                                   // 000000003CE0: 807C32FF 00000500
	v_mfma_f32_16x16x32_fp8_fp8 v[76:79], a[84:85], a[68:69], v[76:79]// 000000003CE8: D3F3004C 1D328954
	v_mfma_f32_16x16x32_fp8_fp8 v[76:79], a[86:87], a[70:71], v[76:79]// 000000003CF0: D3F3004C 1D328D56
	buffer_load_dword v55, s[20:23], 0 offen lds               // 000000003CF8: E0511000 80050037
	s_add_u32 m0, 0x600, s50                                   // 000000003D00: 807C32FF 00000600
	v_mfma_f32_16x16x32_fp8_fp8 v[80:83], a[80:81], a[72:73], v[80:83]// 000000003D08: D3F30050 1D429150
	v_mfma_f32_16x16x32_fp8_fp8 v[80:83], a[82:83], a[74:75], v[80:83]// 000000003D10: D3F30050 1D429552
	buffer_load_dword v56, s[20:23], 0 offen lds               // 000000003D18: E0511000 80050038
	s_add_u32 m0, 0x700, s50                                   // 000000003D20: 807C32FF 00000700
	v_mfma_f32_16x16x32_fp8_fp8 v[80:83], a[84:85], a[76:77], v[80:83]// 000000003D28: D3F30050 1D429954
	v_mfma_f32_16x16x32_fp8_fp8 v[80:83], a[86:87], a[78:79], v[80:83]// 000000003D30: D3F30050 1D429D56
	buffer_load_dword v57, s[20:23], 0 offen lds               // 000000003D38: E0511000 80050039
	s_add_u32 m0, 0x800, s50                                   // 000000003D40: 807C32FF 00000800
	buffer_load_dword v58, s[20:23], 0 offen lds               // 000000003D48: E0511000 8005003A
	s_add_u32 m0, 0x900, s50                                   // 000000003D50: 807C32FF 00000900
	buffer_load_dword v59, s[20:23], 0 offen lds               // 000000003D58: E0511000 8005003B
	s_add_u32 m0, 0, s48                                       // 000000003D60: 807C3080
	s_waitcnt vmcnt(12)                                        // 000000003D64: BF8C0F7C
	s_barrier                                                  // 000000003D68: BF8A0000
	v_mfma_f32_16x16x32_fp8_fp8 v[84:87], a[88:89], a[40:41], v[84:87]// 000000003D6C: D3F30054 1D525158
	v_mfma_f32_16x16x32_fp8_fp8 v[84:87], a[90:91], a[42:43], v[84:87]// 000000003D74: D3F30054 1D52555A
	buffer_load_dwordx4 a[80:83], v60, s[84:87], 0 offen       // 000000003D7C: E05C1000 8095503C
	v_mfma_f32_16x16x32_fp8_fp8 v[84:87], a[92:93], a[44:45], v[84:87]// 000000003D84: D3F30054 1D52595C
	v_mfma_f32_16x16x32_fp8_fp8 v[84:87], a[94:95], a[46:47], v[84:87]// 000000003D8C: D3F30054 1D525D5E
	ds_read_b128 a[0:3], v2 offset:10368                       // 000000003D94: DBFE2880 00000002
	ds_read_b128 a[4:7], v2 offset:10432                       // 000000003D9C: DBFE28C0 04000002
	v_mfma_f32_16x16x32_fp8_fp8 v[88:91], a[88:89], a[48:49], v[88:91]// 000000003DA4: D3F30058 1D626158
	v_mfma_f32_16x16x32_fp8_fp8 v[88:91], a[90:91], a[50:51], v[88:91]// 000000003DAC: D3F30058 1D62655A
	buffer_load_dwordx4 a[84:87], v60, s[84:87], 0 offen offset:1024// 000000003DB4: E05C1400 8095543C
	v_mfma_f32_16x16x32_fp8_fp8 v[88:91], a[92:93], a[52:53], v[88:91]// 000000003DBC: D3F30058 1D62695C
	v_mfma_f32_16x16x32_fp8_fp8 v[88:91], a[94:95], a[54:55], v[88:91]// 000000003DC4: D3F30058 1D626D5E
	ds_read_b128 a[8:11], v2 offset:10880                      // 000000003DCC: DBFE2A80 08000002
	ds_read_b128 a[12:15], v2 offset:10944                     // 000000003DD4: DBFE2AC0 0C000002
	v_mfma_f32_16x16x32_fp8_fp8 v[92:95], a[88:89], a[56:57], v[92:95]// 000000003DDC: D3F3005C 1D727158
	v_mfma_f32_16x16x32_fp8_fp8 v[92:95], a[90:91], a[58:59], v[92:95]// 000000003DE4: D3F3005C 1D72755A
	v_mfma_f32_16x16x32_fp8_fp8 v[92:95], a[92:93], a[60:61], v[92:95]// 000000003DEC: D3F3005C 1D72795C
	v_mfma_f32_16x16x32_fp8_fp8 v[92:95], a[94:95], a[62:63], v[92:95]// 000000003DF4: D3F3005C 1D727D5E
	ds_read_b128 a[16:19], v2 offset:11392                     // 000000003DFC: DBFE2C80 10000002
	ds_read_b128 a[20:23], v2 offset:11456                     // 000000003E04: DBFE2CC0 14000002
	v_mfma_f32_16x16x32_fp8_fp8 v[96:99], a[88:89], a[64:65], v[96:99]// 000000003E0C: D3F30060 1D828158
	s_add_u32 s60, 0x180, s80                                  // 000000003E14: 803C50FF 00000180
	s_cmp_lt_u32 s60, s81                                      // 000000003E1C: BF0A513C
	s_cselect_b32 s57, s57, 0                                  // 000000003E20: 85398039
	v_mfma_f32_16x16x32_fp8_fp8 v[96:99], a[90:91], a[66:67], v[96:99]// 000000003E24: D3F30060 1D82855A
	s_add_u32 s60, 0x100, s80                                  // 000000003E2C: 803C50FF 00000100
	s_cmp_lt_u32 s60, s81                                      // 000000003E34: BF0A513C
	s_cselect_b32 s58, s58, 0                                  // 000000003E38: 853A803A
	v_mfma_f32_16x16x32_fp8_fp8 v[96:99], a[92:93], a[68:69], v[96:99]// 000000003E3C: D3F30060 1D82895C
	s_add_u32 s60, 0x100, s80                                  // 000000003E44: 803C50FF 00000100
	s_cmp_lt_u32 s60, s81                                      // 000000003E4C: BF0A513C
	s_cselect_b32 s83, s83, 0                                  // 000000003E50: 85538053
	v_mfma_f32_16x16x32_fp8_fp8 v[96:99], a[94:95], a[70:71], v[96:99]// 000000003E54: D3F30060 1D828D5E
	ds_read_b128 a[24:27], v2 offset:11904                     // 000000003E5C: DBFE2E80 18000002
	ds_read_b128 a[28:31], v2 offset:11968                     // 000000003E64: DBFE2EC0 1C000002
	s_add_u32 s24, s58, s24                                    // 000000003E6C: 8018183A
	s_addc_u32 s25, 0, s25                                     // 000000003E70: 82191980
	v_mfma_f32_16x16x32_fp8_fp8 v[100:103], a[88:89], a[72:73], v[100:103]// 000000003E74: D3F30064 1D929158
	s_add_u32 s20, s57, s20                                    // 000000003E7C: 80141439
	s_addc_u32 s21, 0, s21                                     // 000000003E80: 82151580
	v_mfma_f32_16x16x32_fp8_fp8 v[100:103], a[90:91], a[74:75], v[100:103]// 000000003E84: D3F30064 1D92955A
	s_add_u32 s84, s83, s84                                    // 000000003E8C: 80545453
	s_addc_u32 s85, 0, s85                                     // 000000003E90: 82555580
	v_mfma_f32_16x16x32_fp8_fp8 v[100:103], a[92:93], a[76:77], v[100:103]// 000000003E94: D3F30064 1D92995C
	v_mfma_f32_16x16x32_fp8_fp8 v[100:103], a[94:95], a[78:79], v[100:103]// 000000003E9C: D3F30064 1D929D5E
	ds_read_b128 a[32:35], v2 offset:12416                     // 000000003EA4: DBFE3080 20000002
	ds_read_b128 a[36:39], v2 offset:12480                     // 000000003EAC: DBFE30C0 24000002
	s_addk_i32 s80, 0x80                                       // 000000003EB4: B7500080
	s_cmp_lt_i32 s80, s81                                      // 000000003EB8: BF045150
	s_cbranch_scc0 label_0687                                  // 000000003EBC: BF840157
	s_waitcnt vmcnt(12) lgkmcnt(0)                             // 000000003EC0: BF8C007C
	v_mfma_f32_16x16x32_fp8_fp8 v[64:67], a[96:97], a[0:1], v[64:67]// 000000003EC4: D3F30040 1D020160
	v_mfma_f32_16x16x32_fp8_fp8 v[64:67], a[98:99], a[2:3], v[64:67]// 000000003ECC: D3F30040 1D020562
	buffer_load_dwordx4 a[88:91], v60, s[24:27], 0 offen       // 000000003ED4: E05C1000 8086583C
	v_mfma_f32_16x16x32_fp8_fp8 v[64:67], a[100:101], a[4:5], v[64:67]// 000000003EDC: D3F30040 1D020964
	v_mfma_f32_16x16x32_fp8_fp8 v[64:67], a[102:103], a[6:7], v[64:67]// 000000003EE4: D3F30040 1D020D66
	v_mfma_f32_16x16x32_fp8_fp8 v[68:71], a[96:97], a[8:9], v[68:71]// 000000003EEC: D3F30044 1D121160
	v_mfma_f32_16x16x32_fp8_fp8 v[68:71], a[98:99], a[10:11], v[68:71]// 000000003EF4: D3F30044 1D121562
	buffer_load_dwordx4 a[92:95], v60, s[24:27], 0 offen offset:1024// 000000003EFC: E05C1400 80865C3C
	buffer_load_dword v50, s[20:23], 0 offen lds               // 000000003F04: E0511000 80050032
	s_add_u32 m0, 0x100, s48                                   // 000000003F0C: 807C30FF 00000100
	v_mfma_f32_16x16x32_fp8_fp8 v[68:71], a[100:101], a[12:13], v[68:71]// 000000003F14: D3F30044 1D121964
	v_mfma_f32_16x16x32_fp8_fp8 v[68:71], a[102:103], a[14:15], v[68:71]// 000000003F1C: D3F30044 1D121D66
	buffer_load_dword v51, s[20:23], 0 offen lds               // 000000003F24: E0511000 80050033
	s_add_u32 m0, 0x200, s48                                   // 000000003F2C: 807C30FF 00000200
	v_mfma_f32_16x16x32_fp8_fp8 v[72:75], a[96:97], a[16:17], v[72:75]// 000000003F34: D3F30048 1D222160
	v_mfma_f32_16x16x32_fp8_fp8 v[72:75], a[98:99], a[18:19], v[72:75]// 000000003F3C: D3F30048 1D222562
	buffer_load_dword v52, s[20:23], 0 offen lds               // 000000003F44: E0511000 80050034
	s_add_u32 m0, 0x300, s48                                   // 000000003F4C: 807C30FF 00000300
	v_mfma_f32_16x16x32_fp8_fp8 v[72:75], a[100:101], a[20:21], v[72:75]// 000000003F54: D3F30048 1D222964
	v_mfma_f32_16x16x32_fp8_fp8 v[72:75], a[102:103], a[22:23], v[72:75]// 000000003F5C: D3F30048 1D222D66
	buffer_load_dword v53, s[20:23], 0 offen lds               // 000000003F64: E0511000 80050035
	s_add_u32 m0, 0x400, s48                                   // 000000003F6C: 807C30FF 00000400
	v_mfma_f32_16x16x32_fp8_fp8 v[76:79], a[96:97], a[24:25], v[76:79]// 000000003F74: D3F3004C 1D323160
	v_mfma_f32_16x16x32_fp8_fp8 v[76:79], a[98:99], a[26:27], v[76:79]// 000000003F7C: D3F3004C 1D323562
	buffer_load_dword v54, s[20:23], 0 offen lds               // 000000003F84: E0511000 80050036
	s_add_u32 m0, 0x500, s48                                   // 000000003F8C: 807C30FF 00000500
	v_mfma_f32_16x16x32_fp8_fp8 v[76:79], a[100:101], a[28:29], v[76:79]// 000000003F94: D3F3004C 1D323964
	v_mfma_f32_16x16x32_fp8_fp8 v[76:79], a[102:103], a[30:31], v[76:79]// 000000003F9C: D3F3004C 1D323D66
	buffer_load_dword v55, s[20:23], 0 offen lds               // 000000003FA4: E0511000 80050037
	s_add_u32 m0, 0x600, s48                                   // 000000003FAC: 807C30FF 00000600
	v_mfma_f32_16x16x32_fp8_fp8 v[80:83], a[96:97], a[32:33], v[80:83]// 000000003FB4: D3F30050 1D424160
	v_mfma_f32_16x16x32_fp8_fp8 v[80:83], a[98:99], a[34:35], v[80:83]// 000000003FBC: D3F30050 1D424562
	buffer_load_dword v56, s[20:23], 0 offen lds               // 000000003FC4: E0511000 80050038
	s_add_u32 m0, 0x700, s48                                   // 000000003FCC: 807C30FF 00000700
	v_mfma_f32_16x16x32_fp8_fp8 v[80:83], a[100:101], a[36:37], v[80:83]// 000000003FD4: D3F30050 1D424964
	v_mfma_f32_16x16x32_fp8_fp8 v[80:83], a[102:103], a[38:39], v[80:83]// 000000003FDC: D3F30050 1D424D66
	buffer_load_dword v57, s[20:23], 0 offen lds               // 000000003FE4: E0511000 80050039
	s_add_u32 m0, 0x800, s48                                   // 000000003FEC: 807C30FF 00000800
	buffer_load_dword v58, s[20:23], 0 offen lds               // 000000003FF4: E0511000 8005003A
	s_add_u32 m0, 0x900, s48                                   // 000000003FFC: 807C30FF 00000900
	buffer_load_dword v59, s[20:23], 0 offen lds               // 000000004004: E0511000 8005003B
	s_add_u32 m0, 0, s49                                       // 00000000400C: 807C3180
	s_waitcnt vmcnt(12)                                        // 000000004010: BF8C0F7C
	s_barrier                                                  // 000000004014: BF8A0000
	v_mfma_f32_16x16x32_fp8_fp8 v[84:87], a[80:81], a[0:1], v[84:87]// 000000004018: D3F30054 1D520150
	v_mfma_f32_16x16x32_fp8_fp8 v[84:87], a[82:83], a[2:3], v[84:87]// 000000004020: D3F30054 1D520552
	buffer_load_dwordx4 a[96:99], v60, s[84:87], 0 offen       // 000000004028: E05C1000 8095603C
	v_mfma_f32_16x16x32_fp8_fp8 v[84:87], a[84:85], a[4:5], v[84:87]// 000000004030: D3F30054 1D520954
	v_mfma_f32_16x16x32_fp8_fp8 v[84:87], a[86:87], a[6:7], v[84:87]// 000000004038: D3F30054 1D520D56
	ds_read_b128 a[40:43], v2 offset:20736                     // 000000004040: DBFE5100 28000002
	ds_read_b128 a[44:47], v2 offset:20800                     // 000000004048: DBFE5140 2C000002
	v_mfma_f32_16x16x32_fp8_fp8 v[88:91], a[80:81], a[8:9], v[88:91]// 000000004050: D3F30058 1D621150
	v_mfma_f32_16x16x32_fp8_fp8 v[88:91], a[82:83], a[10:11], v[88:91]// 000000004058: D3F30058 1D621552
	buffer_load_dwordx4 a[100:103], v60, s[84:87], 0 offen offset:1024// 000000004060: E05C1400 8095643C
	v_mfma_f32_16x16x32_fp8_fp8 v[88:91], a[84:85], a[12:13], v[88:91]// 000000004068: D3F30058 1D621954
	v_mfma_f32_16x16x32_fp8_fp8 v[88:91], a[86:87], a[14:15], v[88:91]// 000000004070: D3F30058 1D621D56
	ds_read_b128 a[48:51], v2 offset:21248                     // 000000004078: DBFE5300 30000002
	ds_read_b128 a[52:55], v2 offset:21312                     // 000000004080: DBFE5340 34000002
	v_mfma_f32_16x16x32_fp8_fp8 v[92:95], a[80:81], a[16:17], v[92:95]// 000000004088: D3F3005C 1D722150
	v_mfma_f32_16x16x32_fp8_fp8 v[92:95], a[82:83], a[18:19], v[92:95]// 000000004090: D3F3005C 1D722552
	v_mfma_f32_16x16x32_fp8_fp8 v[92:95], a[84:85], a[20:21], v[92:95]// 000000004098: D3F3005C 1D722954
	v_mfma_f32_16x16x32_fp8_fp8 v[92:95], a[86:87], a[22:23], v[92:95]// 0000000040A0: D3F3005C 1D722D56
	ds_read_b128 a[56:59], v2 offset:21760                     // 0000000040A8: DBFE5500 38000002
	ds_read_b128 a[60:63], v2 offset:21824                     // 0000000040B0: DBFE5540 3C000002
	v_mfma_f32_16x16x32_fp8_fp8 v[96:99], a[80:81], a[24:25], v[96:99]// 0000000040B8: D3F30060 1D823150
	s_add_u32 s60, 0x180, s80                                  // 0000000040C0: 803C50FF 00000180
	s_cmp_lt_u32 s60, s81                                      // 0000000040C8: BF0A513C
	s_cselect_b32 s57, s57, 0                                  // 0000000040CC: 85398039
	v_mfma_f32_16x16x32_fp8_fp8 v[96:99], a[82:83], a[26:27], v[96:99]// 0000000040D0: D3F30060 1D823552
	s_add_u32 s60, 0x100, s80                                  // 0000000040D8: 803C50FF 00000100
	s_cmp_lt_u32 s60, s81                                      // 0000000040E0: BF0A513C
	s_cselect_b32 s58, s58, 0                                  // 0000000040E4: 853A803A
	v_mfma_f32_16x16x32_fp8_fp8 v[96:99], a[84:85], a[28:29], v[96:99]// 0000000040E8: D3F30060 1D823954
	s_add_u32 s60, 0x100, s80                                  // 0000000040F0: 803C50FF 00000100
	s_cmp_lt_u32 s60, s81                                      // 0000000040F8: BF0A513C
	s_cselect_b32 s83, s83, 0                                  // 0000000040FC: 85538053
	v_mfma_f32_16x16x32_fp8_fp8 v[96:99], a[86:87], a[30:31], v[96:99]// 000000004100: D3F30060 1D823D56
	ds_read_b128 a[64:67], v2 offset:22272                     // 000000004108: DBFE5700 40000002
	ds_read_b128 a[68:71], v2 offset:22336                     // 000000004110: DBFE5740 44000002
	s_add_u32 s24, s58, s24                                    // 000000004118: 8018183A
	s_addc_u32 s25, 0, s25                                     // 00000000411C: 82191980
	v_mfma_f32_16x16x32_fp8_fp8 v[100:103], a[80:81], a[32:33], v[100:103]// 000000004120: D3F30064 1D924150
	s_add_u32 s20, s57, s20                                    // 000000004128: 80141439
	s_addc_u32 s21, 0, s21                                     // 00000000412C: 82151580
	v_mfma_f32_16x16x32_fp8_fp8 v[100:103], a[82:83], a[34:35], v[100:103]// 000000004130: D3F30064 1D924552
	s_add_u32 s84, s83, s84                                    // 000000004138: 80545453
	s_addc_u32 s85, 0, s85                                     // 00000000413C: 82555580
	v_mfma_f32_16x16x32_fp8_fp8 v[100:103], a[84:85], a[36:37], v[100:103]// 000000004140: D3F30064 1D924954
	v_mfma_f32_16x16x32_fp8_fp8 v[100:103], a[86:87], a[38:39], v[100:103]// 000000004148: D3F30064 1D924D56
	ds_read_b128 a[72:75], v2 offset:22784                     // 000000004150: DBFE5900 48000002
	ds_read_b128 a[76:79], v2 offset:22848                     // 000000004158: DBFE5940 4C000002
	s_addk_i32 s80, 0x80                                       // 000000004160: B7500080
	s_cmp_lt_i32 s80, s81                                      // 000000004164: BF045150
	s_cbranch_scc0 label_0687                                  // 000000004168: BF8400AC
	s_waitcnt vmcnt(12) lgkmcnt(0)                             // 00000000416C: BF8C007C
	v_mfma_f32_16x16x32_fp8_fp8 v[64:67], a[88:89], a[40:41], v[64:67]// 000000004170: D3F30040 1D025158
	v_mfma_f32_16x16x32_fp8_fp8 v[64:67], a[90:91], a[42:43], v[64:67]// 000000004178: D3F30040 1D02555A
	buffer_load_dwordx4 a[80:83], v60, s[24:27], 0 offen       // 000000004180: E05C1000 8086503C
	v_mfma_f32_16x16x32_fp8_fp8 v[64:67], a[92:93], a[44:45], v[64:67]// 000000004188: D3F30040 1D02595C
	v_mfma_f32_16x16x32_fp8_fp8 v[64:67], a[94:95], a[46:47], v[64:67]// 000000004190: D3F30040 1D025D5E
	v_mfma_f32_16x16x32_fp8_fp8 v[68:71], a[88:89], a[48:49], v[68:71]// 000000004198: D3F30044 1D126158
	v_mfma_f32_16x16x32_fp8_fp8 v[68:71], a[90:91], a[50:51], v[68:71]// 0000000041A0: D3F30044 1D12655A
	buffer_load_dwordx4 a[84:87], v60, s[24:27], 0 offen offset:1024// 0000000041A8: E05C1400 8086543C
	buffer_load_dword v50, s[20:23], 0 offen lds               // 0000000041B0: E0511000 80050032
	s_add_u32 m0, 0x100, s49                                   // 0000000041B8: 807C31FF 00000100
	v_mfma_f32_16x16x32_fp8_fp8 v[68:71], a[92:93], a[52:53], v[68:71]// 0000000041C0: D3F30044 1D12695C
	v_mfma_f32_16x16x32_fp8_fp8 v[68:71], a[94:95], a[54:55], v[68:71]// 0000000041C8: D3F30044 1D126D5E
	buffer_load_dword v51, s[20:23], 0 offen lds               // 0000000041D0: E0511000 80050033
	s_add_u32 m0, 0x200, s49                                   // 0000000041D8: 807C31FF 00000200
	v_mfma_f32_16x16x32_fp8_fp8 v[72:75], a[88:89], a[56:57], v[72:75]// 0000000041E0: D3F30048 1D227158
	v_mfma_f32_16x16x32_fp8_fp8 v[72:75], a[90:91], a[58:59], v[72:75]// 0000000041E8: D3F30048 1D22755A
	buffer_load_dword v52, s[20:23], 0 offen lds               // 0000000041F0: E0511000 80050034
	s_add_u32 m0, 0x300, s49                                   // 0000000041F8: 807C31FF 00000300
	v_mfma_f32_16x16x32_fp8_fp8 v[72:75], a[92:93], a[60:61], v[72:75]// 000000004200: D3F30048 1D22795C
	v_mfma_f32_16x16x32_fp8_fp8 v[72:75], a[94:95], a[62:63], v[72:75]// 000000004208: D3F30048 1D227D5E
	buffer_load_dword v53, s[20:23], 0 offen lds               // 000000004210: E0511000 80050035
	s_add_u32 m0, 0x400, s49                                   // 000000004218: 807C31FF 00000400
	v_mfma_f32_16x16x32_fp8_fp8 v[76:79], a[88:89], a[64:65], v[76:79]// 000000004220: D3F3004C 1D328158
	v_mfma_f32_16x16x32_fp8_fp8 v[76:79], a[90:91], a[66:67], v[76:79]// 000000004228: D3F3004C 1D32855A
	buffer_load_dword v54, s[20:23], 0 offen lds               // 000000004230: E0511000 80050036
	s_add_u32 m0, 0x500, s49                                   // 000000004238: 807C31FF 00000500
	v_mfma_f32_16x16x32_fp8_fp8 v[76:79], a[92:93], a[68:69], v[76:79]// 000000004240: D3F3004C 1D32895C
	v_mfma_f32_16x16x32_fp8_fp8 v[76:79], a[94:95], a[70:71], v[76:79]// 000000004248: D3F3004C 1D328D5E
	buffer_load_dword v55, s[20:23], 0 offen lds               // 000000004250: E0511000 80050037
	s_add_u32 m0, 0x600, s49                                   // 000000004258: 807C31FF 00000600
	v_mfma_f32_16x16x32_fp8_fp8 v[80:83], a[88:89], a[72:73], v[80:83]// 000000004260: D3F30050 1D429158
	v_mfma_f32_16x16x32_fp8_fp8 v[80:83], a[90:91], a[74:75], v[80:83]// 000000004268: D3F30050 1D42955A
	buffer_load_dword v56, s[20:23], 0 offen lds               // 000000004270: E0511000 80050038
	s_add_u32 m0, 0x700, s49                                   // 000000004278: 807C31FF 00000700
	v_mfma_f32_16x16x32_fp8_fp8 v[80:83], a[92:93], a[76:77], v[80:83]// 000000004280: D3F30050 1D42995C
	v_mfma_f32_16x16x32_fp8_fp8 v[80:83], a[94:95], a[78:79], v[80:83]// 000000004288: D3F30050 1D429D5E
	buffer_load_dword v57, s[20:23], 0 offen lds               // 000000004290: E0511000 80050039
	s_add_u32 m0, 0x800, s49                                   // 000000004298: 807C31FF 00000800
	buffer_load_dword v58, s[20:23], 0 offen lds               // 0000000042A0: E0511000 8005003A
	s_add_u32 m0, 0x900, s49                                   // 0000000042A8: 807C31FF 00000900
	buffer_load_dword v59, s[20:23], 0 offen lds               // 0000000042B0: E0511000 8005003B
	s_add_u32 m0, 0, s50                                       // 0000000042B8: 807C3280
	s_waitcnt vmcnt(12)                                        // 0000000042BC: BF8C0F7C
	s_barrier                                                  // 0000000042C0: BF8A0000
	v_mfma_f32_16x16x32_fp8_fp8 v[84:87], a[96:97], a[40:41], v[84:87]// 0000000042C4: D3F30054 1D525160
	v_mfma_f32_16x16x32_fp8_fp8 v[84:87], a[98:99], a[42:43], v[84:87]// 0000000042CC: D3F30054 1D525562
	buffer_load_dwordx4 a[88:91], v60, s[84:87], 0 offen       // 0000000042D4: E05C1000 8095583C
	v_mfma_f32_16x16x32_fp8_fp8 v[84:87], a[100:101], a[44:45], v[84:87]// 0000000042DC: D3F30054 1D525964
	v_mfma_f32_16x16x32_fp8_fp8 v[84:87], a[102:103], a[46:47], v[84:87]// 0000000042E4: D3F30054 1D525D66
	ds_read_b128 a[0:3], v2                                    // 0000000042EC: DBFE0000 00000002
	ds_read_b128 a[4:7], v2 offset:64                          // 0000000042F4: DBFE0040 04000002
	v_mfma_f32_16x16x32_fp8_fp8 v[88:91], a[96:97], a[48:49], v[88:91]// 0000000042FC: D3F30058 1D626160
	v_mfma_f32_16x16x32_fp8_fp8 v[88:91], a[98:99], a[50:51], v[88:91]// 000000004304: D3F30058 1D626562
	buffer_load_dwordx4 a[92:95], v60, s[84:87], 0 offen offset:1024// 00000000430C: E05C1400 80955C3C
	v_mfma_f32_16x16x32_fp8_fp8 v[88:91], a[100:101], a[52:53], v[88:91]// 000000004314: D3F30058 1D626964
	v_mfma_f32_16x16x32_fp8_fp8 v[88:91], a[102:103], a[54:55], v[88:91]// 00000000431C: D3F30058 1D626D66
	ds_read_b128 a[8:11], v2 offset:512                        // 000000004324: DBFE0200 08000002
	ds_read_b128 a[12:15], v2 offset:576                       // 00000000432C: DBFE0240 0C000002
	v_mfma_f32_16x16x32_fp8_fp8 v[92:95], a[96:97], a[56:57], v[92:95]// 000000004334: D3F3005C 1D727160
	v_mfma_f32_16x16x32_fp8_fp8 v[92:95], a[98:99], a[58:59], v[92:95]// 00000000433C: D3F3005C 1D727562
	v_mfma_f32_16x16x32_fp8_fp8 v[92:95], a[100:101], a[60:61], v[92:95]// 000000004344: D3F3005C 1D727964
	v_mfma_f32_16x16x32_fp8_fp8 v[92:95], a[102:103], a[62:63], v[92:95]// 00000000434C: D3F3005C 1D727D66
	ds_read_b128 a[16:19], v2 offset:1024                      // 000000004354: DBFE0400 10000002
	ds_read_b128 a[20:23], v2 offset:1088                      // 00000000435C: DBFE0440 14000002
	v_mfma_f32_16x16x32_fp8_fp8 v[96:99], a[96:97], a[64:65], v[96:99]// 000000004364: D3F30060 1D828160
	s_add_u32 s60, 0x180, s80                                  // 00000000436C: 803C50FF 00000180
	s_cmp_lt_u32 s60, s81                                      // 000000004374: BF0A513C
	s_cselect_b32 s57, s57, 0                                  // 000000004378: 85398039
	v_mfma_f32_16x16x32_fp8_fp8 v[96:99], a[98:99], a[66:67], v[96:99]// 00000000437C: D3F30060 1D828562
	s_add_u32 s60, 0x100, s80                                  // 000000004384: 803C50FF 00000100
	s_cmp_lt_u32 s60, s81                                      // 00000000438C: BF0A513C
	s_cselect_b32 s58, s58, 0                                  // 000000004390: 853A803A
	v_mfma_f32_16x16x32_fp8_fp8 v[96:99], a[100:101], a[68:69], v[96:99]// 000000004394: D3F30060 1D828964
	s_add_u32 s60, 0x100, s80                                  // 00000000439C: 803C50FF 00000100
	s_cmp_lt_u32 s60, s81                                      // 0000000043A4: BF0A513C
	s_cselect_b32 s83, s83, 0                                  // 0000000043A8: 85538053
	v_mfma_f32_16x16x32_fp8_fp8 v[96:99], a[102:103], a[70:71], v[96:99]// 0000000043AC: D3F30060 1D828D66
	ds_read_b128 a[24:27], v2 offset:1536                      // 0000000043B4: DBFE0600 18000002
	ds_read_b128 a[28:31], v2 offset:1600                      // 0000000043BC: DBFE0640 1C000002
	s_add_u32 s24, s58, s24                                    // 0000000043C4: 8018183A
	s_addc_u32 s25, 0, s25                                     // 0000000043C8: 82191980
	v_mfma_f32_16x16x32_fp8_fp8 v[100:103], a[96:97], a[72:73], v[100:103]// 0000000043CC: D3F30064 1D929160
	s_add_u32 s20, s57, s20                                    // 0000000043D4: 80141439
	s_addc_u32 s21, 0, s21                                     // 0000000043D8: 82151580
	v_mfma_f32_16x16x32_fp8_fp8 v[100:103], a[98:99], a[74:75], v[100:103]// 0000000043DC: D3F30064 1D929562
	s_add_u32 s84, s83, s84                                    // 0000000043E4: 80545453
	s_addc_u32 s85, 0, s85                                     // 0000000043E8: 82555580
	v_mfma_f32_16x16x32_fp8_fp8 v[100:103], a[100:101], a[76:77], v[100:103]// 0000000043EC: D3F30064 1D929964
	v_mfma_f32_16x16x32_fp8_fp8 v[100:103], a[102:103], a[78:79], v[100:103]// 0000000043F4: D3F30064 1D929D66
	ds_read_b128 a[32:35], v2 offset:2048                      // 0000000043FC: DBFE0800 20000002
	ds_read_b128 a[36:39], v2 offset:2112                      // 000000004404: DBFE0840 24000002
	s_addk_i32 s80, 0x80                                       // 00000000440C: B7500080
	s_cmp_lt_i32 s80, s81                                      // 000000004410: BF045150
	s_cbranch_scc0 label_0687                                  // 000000004414: BF840001
	s_branch label_0284                                        // 000000004418: BF82FBFD

000000000000441c <label_0687>:
	v_mul_f32_dpp v64, v24, v64 row_newbcast:0 row_mask:0xf bank_mask:0xf// 00000000441C: 0A8080FA FF015018
	v_mul_f32_dpp v65, v24, v65 row_newbcast:1 row_mask:0xf bank_mask:0xf// 000000004424: 0A8282FA FF015118
	v_mul_f32_dpp v66, v24, v66 row_newbcast:2 row_mask:0xf bank_mask:0xf// 00000000442C: 0A8484FA FF015218
	v_mul_f32_dpp v67, v24, v67 row_newbcast:3 row_mask:0xf bank_mask:0xf// 000000004434: 0A8686FA FF015318
	v_mul_f32_dpp v68, v24, v68 row_newbcast:0 row_mask:0xf bank_mask:0xf// 00000000443C: 0A8888FA FF015018
	v_mul_f32_dpp v69, v24, v69 row_newbcast:1 row_mask:0xf bank_mask:0xf// 000000004444: 0A8A8AFA FF015118
	v_mul_f32_dpp v70, v24, v70 row_newbcast:2 row_mask:0xf bank_mask:0xf// 00000000444C: 0A8C8CFA FF015218
	v_mul_f32_dpp v71, v24, v71 row_newbcast:3 row_mask:0xf bank_mask:0xf// 000000004454: 0A8E8EFA FF015318
	v_mul_f32_dpp v72, v24, v72 row_newbcast:0 row_mask:0xf bank_mask:0xf// 00000000445C: 0A9090FA FF015018
	v_mul_f32_dpp v73, v24, v73 row_newbcast:1 row_mask:0xf bank_mask:0xf// 000000004464: 0A9292FA FF015118
	v_mul_f32_dpp v74, v24, v74 row_newbcast:2 row_mask:0xf bank_mask:0xf// 00000000446C: 0A9494FA FF015218
	v_mul_f32_dpp v75, v24, v75 row_newbcast:3 row_mask:0xf bank_mask:0xf// 000000004474: 0A9696FA FF015318
	v_mul_f32_dpp v76, v24, v76 row_newbcast:0 row_mask:0xf bank_mask:0xf// 00000000447C: 0A9898FA FF015018
	v_mul_f32_dpp v77, v24, v77 row_newbcast:1 row_mask:0xf bank_mask:0xf// 000000004484: 0A9A9AFA FF015118
	v_mul_f32_dpp v78, v24, v78 row_newbcast:2 row_mask:0xf bank_mask:0xf// 00000000448C: 0A9C9CFA FF015218
	v_mul_f32_dpp v79, v24, v79 row_newbcast:3 row_mask:0xf bank_mask:0xf// 000000004494: 0A9E9EFA FF015318
	v_mul_f32_dpp v80, v24, v80 row_newbcast:0 row_mask:0xf bank_mask:0xf// 00000000449C: 0AA0A0FA FF015018
	v_mul_f32_dpp v81, v24, v81 row_newbcast:1 row_mask:0xf bank_mask:0xf// 0000000044A4: 0AA2A2FA FF015118
	v_mul_f32_dpp v82, v24, v82 row_newbcast:2 row_mask:0xf bank_mask:0xf// 0000000044AC: 0AA4A4FA FF015218
	v_mul_f32_dpp v83, v24, v83 row_newbcast:3 row_mask:0xf bank_mask:0xf// 0000000044B4: 0AA6A6FA FF015318
	v_mul_f32_dpp v84, v27, v84 row_newbcast:0 row_mask:0xf bank_mask:0xf// 0000000044BC: 0AA8A8FA FF01501B
	v_mul_f32_dpp v85, v27, v85 row_newbcast:1 row_mask:0xf bank_mask:0xf// 0000000044C4: 0AAAAAFA FF01511B
	v_mul_f32_dpp v86, v27, v86 row_newbcast:2 row_mask:0xf bank_mask:0xf// 0000000044CC: 0AACACFA FF01521B
	v_mul_f32_dpp v87, v27, v87 row_newbcast:3 row_mask:0xf bank_mask:0xf// 0000000044D4: 0AAEAEFA FF01531B
	v_mul_f32_dpp v88, v27, v88 row_newbcast:0 row_mask:0xf bank_mask:0xf// 0000000044DC: 0AB0B0FA FF01501B
	v_mul_f32_dpp v89, v27, v89 row_newbcast:1 row_mask:0xf bank_mask:0xf// 0000000044E4: 0AB2B2FA FF01511B
	v_mul_f32_dpp v90, v27, v90 row_newbcast:2 row_mask:0xf bank_mask:0xf// 0000000044EC: 0AB4B4FA FF01521B
	v_mul_f32_dpp v91, v27, v91 row_newbcast:3 row_mask:0xf bank_mask:0xf// 0000000044F4: 0AB6B6FA FF01531B
	v_mul_f32_dpp v92, v27, v92 row_newbcast:0 row_mask:0xf bank_mask:0xf// 0000000044FC: 0AB8B8FA FF01501B
	v_mul_f32_dpp v93, v27, v93 row_newbcast:1 row_mask:0xf bank_mask:0xf// 000000004504: 0ABABAFA FF01511B
	v_mul_f32_dpp v94, v27, v94 row_newbcast:2 row_mask:0xf bank_mask:0xf// 00000000450C: 0ABCBCFA FF01521B
	v_mul_f32_dpp v95, v27, v95 row_newbcast:3 row_mask:0xf bank_mask:0xf// 000000004514: 0ABEBEFA FF01531B
	v_mul_f32_dpp v96, v27, v96 row_newbcast:0 row_mask:0xf bank_mask:0xf// 00000000451C: 0AC0C0FA FF01501B
	v_mul_f32_dpp v97, v27, v97 row_newbcast:1 row_mask:0xf bank_mask:0xf// 000000004524: 0AC2C2FA FF01511B
	v_mul_f32_dpp v98, v27, v98 row_newbcast:2 row_mask:0xf bank_mask:0xf// 00000000452C: 0AC4C4FA FF01521B
	v_mul_f32_dpp v99, v27, v99 row_newbcast:3 row_mask:0xf bank_mask:0xf// 000000004534: 0AC6C6FA FF01531B
	v_mul_f32_dpp v100, v27, v100 row_newbcast:0 row_mask:0xf bank_mask:0xf// 00000000453C: 0AC8C8FA FF01501B
	v_mul_f32_dpp v101, v27, v101 row_newbcast:1 row_mask:0xf bank_mask:0xf// 000000004544: 0ACACAFA FF01511B
	v_mul_f32_dpp v102, v27, v102 row_newbcast:2 row_mask:0xf bank_mask:0xf// 00000000454C: 0ACCCCFA FF01521B
	v_mul_f32_dpp v103, v27, v103 row_newbcast:3 row_mask:0xf bank_mask:0xf// 000000004554: 0ACECEFA FF01531B
	v_mov_b32_e32 v4, v35                                      // 00000000455C: 7E080323
	v_mov_b32_e32 v5, v4                                       // 000000004560: 7E0A0304
	v_pk_mul_f32 v[64:65], v[4:5], v[64:65]                    // 000000004564: D3B14040 18028104
	v_pk_mul_f32 v[84:85], v[4:5], v[84:85]                    // 00000000456C: D3B14054 1802A904
	v_pk_mul_f32 v[66:67], v[4:5], v[66:67]                    // 000000004574: D3B14042 18028504
	v_pk_mul_f32 v[86:87], v[4:5], v[86:87]                    // 00000000457C: D3B14056 1802AD04
	v_mov_b32_e32 v4, v36                                      // 000000004584: 7E080324
	v_mov_b32_e32 v5, v4                                       // 000000004588: 7E0A0304
	v_pk_mul_f32 v[68:69], v[4:5], v[68:69]                    // 00000000458C: D3B14044 18028904
	v_pk_mul_f32 v[88:89], v[4:5], v[88:89]                    // 000000004594: D3B14058 1802B104
	v_pk_mul_f32 v[70:71], v[4:5], v[70:71]                    // 00000000459C: D3B14046 18028D04
	v_pk_mul_f32 v[90:91], v[4:5], v[90:91]                    // 0000000045A4: D3B1405A 1802B504
	v_mov_b32_e32 v4, v37                                      // 0000000045AC: 7E080325
	v_mov_b32_e32 v5, v4                                       // 0000000045B0: 7E0A0304
	v_pk_mul_f32 v[72:73], v[4:5], v[72:73]                    // 0000000045B4: D3B14048 18029104
	v_pk_mul_f32 v[92:93], v[4:5], v[92:93]                    // 0000000045BC: D3B1405C 1802B904
	v_pk_mul_f32 v[74:75], v[4:5], v[74:75]                    // 0000000045C4: D3B1404A 18029504
	v_pk_mul_f32 v[94:95], v[4:5], v[94:95]                    // 0000000045CC: D3B1405E 1802BD04
	v_mov_b32_e32 v4, v38                                      // 0000000045D4: 7E080326
	v_mov_b32_e32 v5, v4                                       // 0000000045D8: 7E0A0304
	v_pk_mul_f32 v[76:77], v[4:5], v[76:77]                    // 0000000045DC: D3B1404C 18029904
	v_pk_mul_f32 v[96:97], v[4:5], v[96:97]                    // 0000000045E4: D3B14060 1802C104
	v_pk_mul_f32 v[78:79], v[4:5], v[78:79]                    // 0000000045EC: D3B1404E 18029D04
	v_pk_mul_f32 v[98:99], v[4:5], v[98:99]                    // 0000000045F4: D3B14062 1802C504
	v_mov_b32_e32 v4, v39                                      // 0000000045FC: 7E080327
	v_mov_b32_e32 v5, v4                                       // 000000004600: 7E0A0304
	v_pk_mul_f32 v[80:81], v[4:5], v[80:81]                    // 000000004604: D3B14050 1802A104
	v_pk_mul_f32 v[100:101], v[4:5], v[100:101]                // 00000000460C: D3B14064 1802C904
	v_pk_mul_f32 v[82:83], v[4:5], v[82:83]                    // 000000004614: D3B14052 1802A504
	v_pk_mul_f32 v[102:103], v[4:5], v[102:103]                // 00000000461C: D3B14066 1802CD04
	s_cmp_eq_u32 s88, 0                                        // 000000004624: BF068058
	s_cbranch_scc0 label_0ACE                                  // 000000004628: BF8403C3
	s_cmp_eq_u32 s89, 0                                        // 00000000462C: BF068059
	s_cbranch_scc1 label_07DA                                  // 000000004630: BF8500CD
	v_mov_b32_e32 v8, v1                                       // 000000004634: 7E100301
	v_mov_b32_e32 v9, v1                                       // 000000004638: 7E120301
	s_mov_b32 s60, s6                                          // 00000000463C: BEBC0006
	s_mov_b32 s61, s6                                          // 000000004640: BEBD0006
	v_pk_mul_f32 v[4:5], v[64:65], v[64:65]                    // 000000004644: D3B14004 18028140
	v_pk_mul_f32 v[6:7], v[66:67], v[66:67]                    // 00000000464C: D3B14006 18028542
	v_pk_fma_f32 v[4:5], v[4:5], s[78:79], v[8:9]              // 000000004654: D3B04004 1C209D04
	v_pk_fma_f32 v[6:7], v[6:7], s[78:79], v[8:9]              // 00000000465C: D3B04006 1C209D06
	v_pk_mul_f32 v[4:5], v[4:5], v[64:65]                      // 000000004664: D3B14004 18028104
	v_pk_mul_f32 v[6:7], v[6:7], v[66:67]                      // 00000000466C: D3B14006 18028506
	v_pk_mul_f32 v[4:5], v[4:5], s[60:61]                      // 000000004674: D3B14004 18007904
	v_pk_mul_f32 v[6:7], v[6:7], s[60:61]                      // 00000000467C: D3B14006 18007906
	v_exp_f32_e32 v4, v4                                       // 000000004684: 7E084104
	v_exp_f32_e32 v5, v5                                       // 000000004688: 7E0A4105
	v_exp_f32_e32 v6, v6                                       // 00000000468C: 7E0C4106
	v_exp_f32_e32 v7, v7                                       // 000000004690: 7E0E4107
	v_add_f32_e64 v4, v4, 1.0                                  // 000000004694: D1010004 0001E504
	v_add_f32_e64 v5, v5, 1.0                                  // 00000000469C: D1010005 0001E505
	v_add_f32_e64 v6, v6, 1.0                                  // 0000000046A4: D1010006 0001E506
	v_add_f32_e64 v7, v7, 1.0                                  // 0000000046AC: D1010007 0001E507
	v_rcp_f32_e32 v4, v4                                       // 0000000046B4: 7E084504
	v_rcp_f32_e32 v5, v5                                       // 0000000046B8: 7E0A4505
	v_rcp_f32_e32 v6, v6                                       // 0000000046BC: 7E0C4506
	v_rcp_f32_e32 v7, v7                                       // 0000000046C0: 7E0E4507
	v_mul_f32_e32 v64, v64, v4                                 // 0000000046C4: 0A800940
	v_mul_f32_e32 v65, v65, v5                                 // 0000000046C8: 0A820B41
	v_mul_f32_e32 v66, v66, v6                                 // 0000000046CC: 0A840D42
	v_mul_f32_e32 v67, v67, v7                                 // 0000000046D0: 0A860F43
	v_mul_f32_e32 v64, v64, v84                                // 0000000046D4: 0A80A940
	v_mul_f32_e32 v65, v65, v85                                // 0000000046D8: 0A82AB41
	v_mul_f32_e32 v66, v66, v86                                // 0000000046DC: 0A84AD42
	v_mul_f32_e32 v67, v67, v87                                // 0000000046E0: 0A86AF43
	v_pk_mul_f32 v[4:5], v[68:69], v[68:69]                    // 0000000046E4: D3B14004 18028944
	v_pk_mul_f32 v[6:7], v[70:71], v[70:71]                    // 0000000046EC: D3B14006 18028D46
	v_pk_fma_f32 v[4:5], v[4:5], s[78:79], v[8:9]              // 0000000046F4: D3B04004 1C209D04
	v_pk_fma_f32 v[6:7], v[6:7], s[78:79], v[8:9]              // 0000000046FC: D3B04006 1C209D06
	v_pk_mul_f32 v[4:5], v[4:5], v[68:69]                      // 000000004704: D3B14004 18028904
	v_pk_mul_f32 v[6:7], v[6:7], v[70:71]                      // 00000000470C: D3B14006 18028D06
	v_pk_mul_f32 v[4:5], v[4:5], s[60:61]                      // 000000004714: D3B14004 18007904
	v_pk_mul_f32 v[6:7], v[6:7], s[60:61]                      // 00000000471C: D3B14006 18007906
	v_exp_f32_e32 v4, v4                                       // 000000004724: 7E084104
	v_exp_f32_e32 v5, v5                                       // 000000004728: 7E0A4105
	v_exp_f32_e32 v6, v6                                       // 00000000472C: 7E0C4106
	v_exp_f32_e32 v7, v7                                       // 000000004730: 7E0E4107
	v_add_f32_e64 v4, v4, 1.0                                  // 000000004734: D1010004 0001E504
	v_add_f32_e64 v5, v5, 1.0                                  // 00000000473C: D1010005 0001E505
	v_add_f32_e64 v6, v6, 1.0                                  // 000000004744: D1010006 0001E506
	v_add_f32_e64 v7, v7, 1.0                                  // 00000000474C: D1010007 0001E507
	v_rcp_f32_e32 v4, v4                                       // 000000004754: 7E084504
	v_rcp_f32_e32 v5, v5                                       // 000000004758: 7E0A4505
	v_rcp_f32_e32 v6, v6                                       // 00000000475C: 7E0C4506
	v_rcp_f32_e32 v7, v7                                       // 000000004760: 7E0E4507
	v_mul_f32_e32 v68, v68, v4                                 // 000000004764: 0A880944
	v_mul_f32_e32 v69, v69, v5                                 // 000000004768: 0A8A0B45
	v_mul_f32_e32 v70, v70, v6                                 // 00000000476C: 0A8C0D46
	v_mul_f32_e32 v71, v71, v7                                 // 000000004770: 0A8E0F47
	v_mul_f32_e32 v68, v68, v88                                // 000000004774: 0A88B144
	v_mul_f32_e32 v69, v69, v89                                // 000000004778: 0A8AB345
	v_mul_f32_e32 v70, v70, v90                                // 00000000477C: 0A8CB546
	v_mul_f32_e32 v71, v71, v91                                // 000000004780: 0A8EB747
	v_pk_mul_f32 v[4:5], v[72:73], v[72:73]                    // 000000004784: D3B14004 18029148
	v_pk_mul_f32 v[6:7], v[74:75], v[74:75]                    // 00000000478C: D3B14006 1802954A
	v_pk_fma_f32 v[4:5], v[4:5], s[78:79], v[8:9]              // 000000004794: D3B04004 1C209D04
	v_pk_fma_f32 v[6:7], v[6:7], s[78:79], v[8:9]              // 00000000479C: D3B04006 1C209D06
	v_pk_mul_f32 v[4:5], v[4:5], v[72:73]                      // 0000000047A4: D3B14004 18029104
	v_pk_mul_f32 v[6:7], v[6:7], v[74:75]                      // 0000000047AC: D3B14006 18029506
	v_pk_mul_f32 v[4:5], v[4:5], s[60:61]                      // 0000000047B4: D3B14004 18007904
	v_pk_mul_f32 v[6:7], v[6:7], s[60:61]                      // 0000000047BC: D3B14006 18007906
	v_exp_f32_e32 v4, v4                                       // 0000000047C4: 7E084104
	v_exp_f32_e32 v5, v5                                       // 0000000047C8: 7E0A4105
	v_exp_f32_e32 v6, v6                                       // 0000000047CC: 7E0C4106
	v_exp_f32_e32 v7, v7                                       // 0000000047D0: 7E0E4107
	v_add_f32_e64 v4, v4, 1.0                                  // 0000000047D4: D1010004 0001E504
	v_add_f32_e64 v5, v5, 1.0                                  // 0000000047DC: D1010005 0001E505
	v_add_f32_e64 v6, v6, 1.0                                  // 0000000047E4: D1010006 0001E506
	v_add_f32_e64 v7, v7, 1.0                                  // 0000000047EC: D1010007 0001E507
	v_rcp_f32_e32 v4, v4                                       // 0000000047F4: 7E084504
	v_rcp_f32_e32 v5, v5                                       // 0000000047F8: 7E0A4505
	v_rcp_f32_e32 v6, v6                                       // 0000000047FC: 7E0C4506
	v_rcp_f32_e32 v7, v7                                       // 000000004800: 7E0E4507
	v_mul_f32_e32 v72, v72, v4                                 // 000000004804: 0A900948
	v_mul_f32_e32 v73, v73, v5                                 // 000000004808: 0A920B49
	v_mul_f32_e32 v74, v74, v6                                 // 00000000480C: 0A940D4A
	v_mul_f32_e32 v75, v75, v7                                 // 000000004810: 0A960F4B
	v_mul_f32_e32 v72, v72, v92                                // 000000004814: 0A90B948
	v_mul_f32_e32 v73, v73, v93                                // 000000004818: 0A92BB49
	v_mul_f32_e32 v74, v74, v94                                // 00000000481C: 0A94BD4A
	v_mul_f32_e32 v75, v75, v95                                // 000000004820: 0A96BF4B
	v_pk_mul_f32 v[4:5], v[76:77], v[76:77]                    // 000000004824: D3B14004 1802994C
	v_pk_mul_f32 v[6:7], v[78:79], v[78:79]                    // 00000000482C: D3B14006 18029D4E
	v_pk_fma_f32 v[4:5], v[4:5], s[78:79], v[8:9]              // 000000004834: D3B04004 1C209D04
	v_pk_fma_f32 v[6:7], v[6:7], s[78:79], v[8:9]              // 00000000483C: D3B04006 1C209D06
	v_pk_mul_f32 v[4:5], v[4:5], v[76:77]                      // 000000004844: D3B14004 18029904
	v_pk_mul_f32 v[6:7], v[6:7], v[78:79]                      // 00000000484C: D3B14006 18029D06
	v_pk_mul_f32 v[4:5], v[4:5], s[60:61]                      // 000000004854: D3B14004 18007904
	v_pk_mul_f32 v[6:7], v[6:7], s[60:61]                      // 00000000485C: D3B14006 18007906
	v_exp_f32_e32 v4, v4                                       // 000000004864: 7E084104
	v_exp_f32_e32 v5, v5                                       // 000000004868: 7E0A4105
	v_exp_f32_e32 v6, v6                                       // 00000000486C: 7E0C4106
	v_exp_f32_e32 v7, v7                                       // 000000004870: 7E0E4107
	v_add_f32_e64 v4, v4, 1.0                                  // 000000004874: D1010004 0001E504
	v_add_f32_e64 v5, v5, 1.0                                  // 00000000487C: D1010005 0001E505
	v_add_f32_e64 v6, v6, 1.0                                  // 000000004884: D1010006 0001E506
	v_add_f32_e64 v7, v7, 1.0                                  // 00000000488C: D1010007 0001E507
	v_rcp_f32_e32 v4, v4                                       // 000000004894: 7E084504
	v_rcp_f32_e32 v5, v5                                       // 000000004898: 7E0A4505
	v_rcp_f32_e32 v6, v6                                       // 00000000489C: 7E0C4506
	v_rcp_f32_e32 v7, v7                                       // 0000000048A0: 7E0E4507
	v_mul_f32_e32 v76, v76, v4                                 // 0000000048A4: 0A98094C
	v_mul_f32_e32 v77, v77, v5                                 // 0000000048A8: 0A9A0B4D
	v_mul_f32_e32 v78, v78, v6                                 // 0000000048AC: 0A9C0D4E
	v_mul_f32_e32 v79, v79, v7                                 // 0000000048B0: 0A9E0F4F
	v_mul_f32_e32 v76, v76, v96                                // 0000000048B4: 0A98C14C
	v_mul_f32_e32 v77, v77, v97                                // 0000000048B8: 0A9AC34D
	v_mul_f32_e32 v78, v78, v98                                // 0000000048BC: 0A9CC54E
	v_mul_f32_e32 v79, v79, v99                                // 0000000048C0: 0A9EC74F
	v_pk_mul_f32 v[4:5], v[80:81], v[80:81]                    // 0000000048C4: D3B14004 1802A150
	v_pk_mul_f32 v[6:7], v[82:83], v[82:83]                    // 0000000048CC: D3B14006 1802A552
	v_pk_fma_f32 v[4:5], v[4:5], s[78:79], v[8:9]              // 0000000048D4: D3B04004 1C209D04
	v_pk_fma_f32 v[6:7], v[6:7], s[78:79], v[8:9]              // 0000000048DC: D3B04006 1C209D06
	v_pk_mul_f32 v[4:5], v[4:5], v[80:81]                      // 0000000048E4: D3B14004 1802A104
	v_pk_mul_f32 v[6:7], v[6:7], v[82:83]                      // 0000000048EC: D3B14006 1802A506
	v_pk_mul_f32 v[4:5], v[4:5], s[60:61]                      // 0000000048F4: D3B14004 18007904
	v_pk_mul_f32 v[6:7], v[6:7], s[60:61]                      // 0000000048FC: D3B14006 18007906
	v_exp_f32_e32 v4, v4                                       // 000000004904: 7E084104
	v_exp_f32_e32 v5, v5                                       // 000000004908: 7E0A4105
	v_exp_f32_e32 v6, v6                                       // 00000000490C: 7E0C4106
	v_exp_f32_e32 v7, v7                                       // 000000004910: 7E0E4107
	v_add_f32_e64 v4, v4, 1.0                                  // 000000004914: D1010004 0001E504
	v_add_f32_e64 v5, v5, 1.0                                  // 00000000491C: D1010005 0001E505
	v_add_f32_e64 v6, v6, 1.0                                  // 000000004924: D1010006 0001E506
	v_add_f32_e64 v7, v7, 1.0                                  // 00000000492C: D1010007 0001E507
	v_rcp_f32_e32 v4, v4                                       // 000000004934: 7E084504
	v_rcp_f32_e32 v5, v5                                       // 000000004938: 7E0A4505
	v_rcp_f32_e32 v6, v6                                       // 00000000493C: 7E0C4506
	v_rcp_f32_e32 v7, v7                                       // 000000004940: 7E0E4507
	v_mul_f32_e32 v80, v80, v4                                 // 000000004944: 0AA00950
	v_mul_f32_e32 v81, v81, v5                                 // 000000004948: 0AA20B51
	v_mul_f32_e32 v82, v82, v6                                 // 00000000494C: 0AA40D52
	v_mul_f32_e32 v83, v83, v7                                 // 000000004950: 0AA60F53
	v_mul_f32_e32 v80, v80, v100                               // 000000004954: 0AA0C950
	v_mul_f32_e32 v81, v81, v101                               // 000000004958: 0AA2CB51
	v_mul_f32_e32 v82, v82, v102                               // 00000000495C: 0AA4CD52
	v_mul_f32_e32 v83, v83, v103                               // 000000004960: 0AA6CF53
	s_branch label_087A                                        // 000000004964: BF8200A0

0000000000004968 <label_07DA>:
	v_mul_f32_e64 v4, -v64, s6                                 // 000000004968: D1050004 20000D40
	v_mul_f32_e64 v5, -v65, s6                                 // 000000004970: D1050005 20000D41
	v_mul_f32_e64 v6, -v66, s6                                 // 000000004978: D1050006 20000D42
	v_mul_f32_e64 v7, -v67, s6                                 // 000000004980: D1050007 20000D43
	v_exp_f32_e32 v4, v4                                       // 000000004988: 7E084104
	v_exp_f32_e32 v5, v5                                       // 00000000498C: 7E0A4105
	v_exp_f32_e32 v6, v6                                       // 000000004990: 7E0C4106
	v_exp_f32_e32 v7, v7                                       // 000000004994: 7E0E4107
	v_add_f32_e64 v4, v4, 1.0                                  // 000000004998: D1010004 0001E504
	v_add_f32_e64 v5, v5, 1.0                                  // 0000000049A0: D1010005 0001E505
	v_add_f32_e64 v6, v6, 1.0                                  // 0000000049A8: D1010006 0001E506
	v_add_f32_e64 v7, v7, 1.0                                  // 0000000049B0: D1010007 0001E507
	v_rcp_f32_e32 v4, v4                                       // 0000000049B8: 7E084504
	v_rcp_f32_e32 v5, v5                                       // 0000000049BC: 7E0A4505
	v_rcp_f32_e32 v6, v6                                       // 0000000049C0: 7E0C4506
	v_rcp_f32_e32 v7, v7                                       // 0000000049C4: 7E0E4507
	v_mul_f32_e32 v64, v64, v4                                 // 0000000049C8: 0A800940
	v_mul_f32_e32 v65, v65, v5                                 // 0000000049CC: 0A820B41
	v_mul_f32_e32 v66, v66, v6                                 // 0000000049D0: 0A840D42
	v_mul_f32_e32 v67, v67, v7                                 // 0000000049D4: 0A860F43
	v_mul_f32_e32 v64, v64, v84                                // 0000000049D8: 0A80A940
	v_mul_f32_e32 v65, v65, v85                                // 0000000049DC: 0A82AB41
	v_mul_f32_e32 v66, v66, v86                                // 0000000049E0: 0A84AD42
	v_mul_f32_e32 v67, v67, v87                                // 0000000049E4: 0A86AF43
	v_mul_f32_e64 v4, -v68, s6                                 // 0000000049E8: D1050004 20000D44
	v_mul_f32_e64 v5, -v69, s6                                 // 0000000049F0: D1050005 20000D45
	v_mul_f32_e64 v6, -v70, s6                                 // 0000000049F8: D1050006 20000D46
	v_mul_f32_e64 v7, -v71, s6                                 // 000000004A00: D1050007 20000D47
	v_exp_f32_e32 v4, v4                                       // 000000004A08: 7E084104
	v_exp_f32_e32 v5, v5                                       // 000000004A0C: 7E0A4105
	v_exp_f32_e32 v6, v6                                       // 000000004A10: 7E0C4106
	v_exp_f32_e32 v7, v7                                       // 000000004A14: 7E0E4107
	v_add_f32_e64 v4, v4, 1.0                                  // 000000004A18: D1010004 0001E504
	v_add_f32_e64 v5, v5, 1.0                                  // 000000004A20: D1010005 0001E505
	v_add_f32_e64 v6, v6, 1.0                                  // 000000004A28: D1010006 0001E506
	v_add_f32_e64 v7, v7, 1.0                                  // 000000004A30: D1010007 0001E507
	v_rcp_f32_e32 v4, v4                                       // 000000004A38: 7E084504
	v_rcp_f32_e32 v5, v5                                       // 000000004A3C: 7E0A4505
	v_rcp_f32_e32 v6, v6                                       // 000000004A40: 7E0C4506
	v_rcp_f32_e32 v7, v7                                       // 000000004A44: 7E0E4507
	v_mul_f32_e32 v68, v68, v4                                 // 000000004A48: 0A880944
	v_mul_f32_e32 v69, v69, v5                                 // 000000004A4C: 0A8A0B45
	v_mul_f32_e32 v70, v70, v6                                 // 000000004A50: 0A8C0D46
	v_mul_f32_e32 v71, v71, v7                                 // 000000004A54: 0A8E0F47
	v_mul_f32_e32 v68, v68, v88                                // 000000004A58: 0A88B144
	v_mul_f32_e32 v69, v69, v89                                // 000000004A5C: 0A8AB345
	v_mul_f32_e32 v70, v70, v90                                // 000000004A60: 0A8CB546
	v_mul_f32_e32 v71, v71, v91                                // 000000004A64: 0A8EB747
	v_mul_f32_e64 v4, -v72, s6                                 // 000000004A68: D1050004 20000D48
	v_mul_f32_e64 v5, -v73, s6                                 // 000000004A70: D1050005 20000D49
	v_mul_f32_e64 v6, -v74, s6                                 // 000000004A78: D1050006 20000D4A
	v_mul_f32_e64 v7, -v75, s6                                 // 000000004A80: D1050007 20000D4B
	v_exp_f32_e32 v4, v4                                       // 000000004A88: 7E084104
	v_exp_f32_e32 v5, v5                                       // 000000004A8C: 7E0A4105
	v_exp_f32_e32 v6, v6                                       // 000000004A90: 7E0C4106
	v_exp_f32_e32 v7, v7                                       // 000000004A94: 7E0E4107
	v_add_f32_e64 v4, v4, 1.0                                  // 000000004A98: D1010004 0001E504
	v_add_f32_e64 v5, v5, 1.0                                  // 000000004AA0: D1010005 0001E505
	v_add_f32_e64 v6, v6, 1.0                                  // 000000004AA8: D1010006 0001E506
	v_add_f32_e64 v7, v7, 1.0                                  // 000000004AB0: D1010007 0001E507
	v_rcp_f32_e32 v4, v4                                       // 000000004AB8: 7E084504
	v_rcp_f32_e32 v5, v5                                       // 000000004ABC: 7E0A4505
	v_rcp_f32_e32 v6, v6                                       // 000000004AC0: 7E0C4506
	v_rcp_f32_e32 v7, v7                                       // 000000004AC4: 7E0E4507
	v_mul_f32_e32 v72, v72, v4                                 // 000000004AC8: 0A900948
	v_mul_f32_e32 v73, v73, v5                                 // 000000004ACC: 0A920B49
	v_mul_f32_e32 v74, v74, v6                                 // 000000004AD0: 0A940D4A
	v_mul_f32_e32 v75, v75, v7                                 // 000000004AD4: 0A960F4B
	v_mul_f32_e32 v72, v72, v92                                // 000000004AD8: 0A90B948
	v_mul_f32_e32 v73, v73, v93                                // 000000004ADC: 0A92BB49
	v_mul_f32_e32 v74, v74, v94                                // 000000004AE0: 0A94BD4A
	v_mul_f32_e32 v75, v75, v95                                // 000000004AE4: 0A96BF4B
	v_mul_f32_e64 v4, -v76, s6                                 // 000000004AE8: D1050004 20000D4C
	v_mul_f32_e64 v5, -v77, s6                                 // 000000004AF0: D1050005 20000D4D
	v_mul_f32_e64 v6, -v78, s6                                 // 000000004AF8: D1050006 20000D4E
	v_mul_f32_e64 v7, -v79, s6                                 // 000000004B00: D1050007 20000D4F
	v_exp_f32_e32 v4, v4                                       // 000000004B08: 7E084104
	v_exp_f32_e32 v5, v5                                       // 000000004B0C: 7E0A4105
	v_exp_f32_e32 v6, v6                                       // 000000004B10: 7E0C4106
	v_exp_f32_e32 v7, v7                                       // 000000004B14: 7E0E4107
	v_add_f32_e64 v4, v4, 1.0                                  // 000000004B18: D1010004 0001E504
	v_add_f32_e64 v5, v5, 1.0                                  // 000000004B20: D1010005 0001E505
	v_add_f32_e64 v6, v6, 1.0                                  // 000000004B28: D1010006 0001E506
	v_add_f32_e64 v7, v7, 1.0                                  // 000000004B30: D1010007 0001E507
	v_rcp_f32_e32 v4, v4                                       // 000000004B38: 7E084504
	v_rcp_f32_e32 v5, v5                                       // 000000004B3C: 7E0A4505
	v_rcp_f32_e32 v6, v6                                       // 000000004B40: 7E0C4506
	v_rcp_f32_e32 v7, v7                                       // 000000004B44: 7E0E4507
	v_mul_f32_e32 v76, v76, v4                                 // 000000004B48: 0A98094C
	v_mul_f32_e32 v77, v77, v5                                 // 000000004B4C: 0A9A0B4D
	v_mul_f32_e32 v78, v78, v6                                 // 000000004B50: 0A9C0D4E
	v_mul_f32_e32 v79, v79, v7                                 // 000000004B54: 0A9E0F4F
	v_mul_f32_e32 v76, v76, v96                                // 000000004B58: 0A98C14C
	v_mul_f32_e32 v77, v77, v97                                // 000000004B5C: 0A9AC34D
	v_mul_f32_e32 v78, v78, v98                                // 000000004B60: 0A9CC54E
	v_mul_f32_e32 v79, v79, v99                                // 000000004B64: 0A9EC74F
	v_mul_f32_e64 v4, -v80, s6                                 // 000000004B68: D1050004 20000D50
	v_mul_f32_e64 v5, -v81, s6                                 // 000000004B70: D1050005 20000D51
	v_mul_f32_e64 v6, -v82, s6                                 // 000000004B78: D1050006 20000D52
	v_mul_f32_e64 v7, -v83, s6                                 // 000000004B80: D1050007 20000D53
	v_exp_f32_e32 v4, v4                                       // 000000004B88: 7E084104
	v_exp_f32_e32 v5, v5                                       // 000000004B8C: 7E0A4105
	v_exp_f32_e32 v6, v6                                       // 000000004B90: 7E0C4106
	v_exp_f32_e32 v7, v7                                       // 000000004B94: 7E0E4107
	v_add_f32_e64 v4, v4, 1.0                                  // 000000004B98: D1010004 0001E504
	v_add_f32_e64 v5, v5, 1.0                                  // 000000004BA0: D1010005 0001E505
	v_add_f32_e64 v6, v6, 1.0                                  // 000000004BA8: D1010006 0001E506
	v_add_f32_e64 v7, v7, 1.0                                  // 000000004BB0: D1010007 0001E507
	v_rcp_f32_e32 v4, v4                                       // 000000004BB8: 7E084504
	v_rcp_f32_e32 v5, v5                                       // 000000004BBC: 7E0A4505
	v_rcp_f32_e32 v6, v6                                       // 000000004BC0: 7E0C4506
	v_rcp_f32_e32 v7, v7                                       // 000000004BC4: 7E0E4507
	v_mul_f32_e32 v80, v80, v4                                 // 000000004BC8: 0AA00950
	v_mul_f32_e32 v81, v81, v5                                 // 000000004BCC: 0AA20B51
	v_mul_f32_e32 v82, v82, v6                                 // 000000004BD0: 0AA40D52
	v_mul_f32_e32 v83, v83, v7                                 // 000000004BD4: 0AA60F53
	v_mul_f32_e32 v80, v80, v100                               // 000000004BD8: 0AA0C950
	v_mul_f32_e32 v81, v81, v101                               // 000000004BDC: 0AA2CB51
	v_mul_f32_e32 v82, v82, v102                               // 000000004BE0: 0AA4CD52
	v_mul_f32_e32 v83, v83, v103                               // 000000004BE4: 0AA6CF53

0000000000004be8 <label_087A>:
	v_cmp_u_f32_e64 s[46:47], v64, v64                         // 000000004BE8: D048002E 00028140
	v_add3_u32 v16, v64, v19, 1                                // 000000004BF0: D1FF0010 02062740
	v_cndmask_b32_e64 v4, v16, v18, s[46:47]                   // 000000004BF8: D1000004 00BA2510
	v_cmp_u_f32_e64 s[46:47], v65, v65                         // 000000004C00: D048002E 00028341
	v_add3_u32 v16, v65, v19, 1                                // 000000004C08: D1FF0010 02062741
	v_cndmask_b32_e64 v5, v16, v18, s[46:47]                   // 000000004C10: D1000005 00BA2510
	v_perm_b32 v64, v5, v4, s52                                // 000000004C18: D1ED0040 00D20905
	v_cmp_u_f32_e64 s[46:47], v66, v66                         // 000000004C20: D048002E 00028542
	v_add3_u32 v16, v66, v19, 1                                // 000000004C28: D1FF0010 02062742
	v_cndmask_b32_e64 v4, v16, v18, s[46:47]                   // 000000004C30: D1000004 00BA2510
	v_cmp_u_f32_e64 s[46:47], v67, v67                         // 000000004C38: D048002E 00028743
	v_add3_u32 v16, v67, v19, 1                                // 000000004C40: D1FF0010 02062743
	v_cndmask_b32_e64 v5, v16, v18, s[46:47]                   // 000000004C48: D1000005 00BA2510
	v_perm_b32 v65, v5, v4, s52                                // 000000004C50: D1ED0041 00D20905
	v_cmp_u_f32_e64 s[46:47], v68, v68                         // 000000004C58: D048002E 00028944
	v_add3_u32 v16, v68, v19, 1                                // 000000004C60: D1FF0010 02062744
	v_cndmask_b32_e64 v4, v16, v18, s[46:47]                   // 000000004C68: D1000004 00BA2510
	v_cmp_u_f32_e64 s[46:47], v69, v69                         // 000000004C70: D048002E 00028B45
	v_add3_u32 v16, v69, v19, 1                                // 000000004C78: D1FF0010 02062745
	v_cndmask_b32_e64 v5, v16, v18, s[46:47]                   // 000000004C80: D1000005 00BA2510
	v_perm_b32 v66, v5, v4, s52                                // 000000004C88: D1ED0042 00D20905
	v_cmp_u_f32_e64 s[46:47], v70, v70                         // 000000004C90: D048002E 00028D46
	v_add3_u32 v16, v70, v19, 1                                // 000000004C98: D1FF0010 02062746
	v_cndmask_b32_e64 v4, v16, v18, s[46:47]                   // 000000004CA0: D1000004 00BA2510
	v_cmp_u_f32_e64 s[46:47], v71, v71                         // 000000004CA8: D048002E 00028F47
	v_add3_u32 v16, v71, v19, 1                                // 000000004CB0: D1FF0010 02062747
	v_cndmask_b32_e64 v5, v16, v18, s[46:47]                   // 000000004CB8: D1000005 00BA2510
	v_perm_b32 v67, v5, v4, s52                                // 000000004CC0: D1ED0043 00D20905
	v_cmp_u_f32_e64 s[46:47], v72, v72                         // 000000004CC8: D048002E 00029148
	v_add3_u32 v16, v72, v19, 1                                // 000000004CD0: D1FF0010 02062748
	v_cndmask_b32_e64 v4, v16, v18, s[46:47]                   // 000000004CD8: D1000004 00BA2510
	v_cmp_u_f32_e64 s[46:47], v73, v73                         // 000000004CE0: D048002E 00029349
	v_add3_u32 v16, v73, v19, 1                                // 000000004CE8: D1FF0010 02062749
	v_cndmask_b32_e64 v5, v16, v18, s[46:47]                   // 000000004CF0: D1000005 00BA2510
	v_perm_b32 v68, v5, v4, s52                                // 000000004CF8: D1ED0044 00D20905
	v_cmp_u_f32_e64 s[46:47], v74, v74                         // 000000004D00: D048002E 0002954A
	v_add3_u32 v16, v74, v19, 1                                // 000000004D08: D1FF0010 0206274A
	v_cndmask_b32_e64 v4, v16, v18, s[46:47]                   // 000000004D10: D1000004 00BA2510
	v_cmp_u_f32_e64 s[46:47], v75, v75                         // 000000004D18: D048002E 0002974B
	v_add3_u32 v16, v75, v19, 1                                // 000000004D20: D1FF0010 0206274B
	v_cndmask_b32_e64 v5, v16, v18, s[46:47]                   // 000000004D28: D1000005 00BA2510
	v_perm_b32 v69, v5, v4, s52                                // 000000004D30: D1ED0045 00D20905
	v_cmp_u_f32_e64 s[46:47], v76, v76                         // 000000004D38: D048002E 0002994C
	v_add3_u32 v16, v76, v19, 1                                // 000000004D40: D1FF0010 0206274C
	v_cndmask_b32_e64 v4, v16, v18, s[46:47]                   // 000000004D48: D1000004 00BA2510
	v_cmp_u_f32_e64 s[46:47], v77, v77                         // 000000004D50: D048002E 00029B4D
	v_add3_u32 v16, v77, v19, 1                                // 000000004D58: D1FF0010 0206274D
	v_cndmask_b32_e64 v5, v16, v18, s[46:47]                   // 000000004D60: D1000005 00BA2510
	v_perm_b32 v70, v5, v4, s52                                // 000000004D68: D1ED0046 00D20905
	v_cmp_u_f32_e64 s[46:47], v78, v78                         // 000000004D70: D048002E 00029D4E
	v_add3_u32 v16, v78, v19, 1                                // 000000004D78: D1FF0010 0206274E
	v_cndmask_b32_e64 v4, v16, v18, s[46:47]                   // 000000004D80: D1000004 00BA2510
	v_cmp_u_f32_e64 s[46:47], v79, v79                         // 000000004D88: D048002E 00029F4F
	v_add3_u32 v16, v79, v19, 1                                // 000000004D90: D1FF0010 0206274F
	v_cndmask_b32_e64 v5, v16, v18, s[46:47]                   // 000000004D98: D1000005 00BA2510
	v_perm_b32 v71, v5, v4, s52                                // 000000004DA0: D1ED0047 00D20905
	v_cmp_u_f32_e64 s[46:47], v80, v80                         // 000000004DA8: D048002E 0002A150
	v_add3_u32 v16, v80, v19, 1                                // 000000004DB0: D1FF0010 02062750
	v_cndmask_b32_e64 v4, v16, v18, s[46:47]                   // 000000004DB8: D1000004 00BA2510
	v_cmp_u_f32_e64 s[46:47], v81, v81                         // 000000004DC0: D048002E 0002A351
	v_add3_u32 v16, v81, v19, 1                                // 000000004DC8: D1FF0010 02062751
	v_cndmask_b32_e64 v5, v16, v18, s[46:47]                   // 000000004DD0: D1000005 00BA2510
	v_perm_b32 v72, v5, v4, s52                                // 000000004DD8: D1ED0048 00D20905
	v_cmp_u_f32_e64 s[46:47], v82, v82                         // 000000004DE0: D048002E 0002A552
	v_add3_u32 v16, v82, v19, 1                                // 000000004DE8: D1FF0010 02062752
	v_cndmask_b32_e64 v4, v16, v18, s[46:47]                   // 000000004DF0: D1000004 00BA2510
	v_cmp_u_f32_e64 s[46:47], v83, v83                         // 000000004DF8: D048002E 0002A753
	v_add3_u32 v16, v83, v19, 1                                // 000000004E00: D1FF0010 02062753
	v_cndmask_b32_e64 v5, v16, v18, s[46:47]                   // 000000004E08: D1000005 00BA2510
	v_perm_b32 v73, v5, v4, s52                                // 000000004E10: D1ED0049 00D20905
	ds_write_b64 v20, v[64:65]                                 // 000000004E18: D89A0000 00004014
	ds_write_b64 v20, v[66:67] offset:2176                     // 000000004E20: D89A0880 00004214
	ds_write_b64 v20, v[68:69] offset:4352                     // 000000004E28: D89A1100 00004414
	ds_write_b64 v20, v[70:71] offset:6528                     // 000000004E30: D89A1980 00004614
	ds_write_b64 v20, v[72:73] offset:8704                     // 000000004E38: D89A2200 00004814
	v_lshrrev_b32_e32 v4, 5, v0                                // 000000004E40: 20080085
	v_xor_b32_e32 v5, 1, v4                                    // 000000004E44: 2A0A0881
	s_mul_i32 s60, s65, 2                                      // 000000004E48: 923C8241
	s_cmp_eq_u32 s88, 0                                        // 000000004E4C: BF068058
	s_cselect_b32 s61, 1, 4                                    // 000000004E50: 853D8481
	s_mul_i32 s60, s61, s60                                    // 000000004E54: 923C3C3D
	v_readlane_b32 s82, v3, 0                                  // 000000004E58: D2890052 00010103
	s_lshr_b32 s61, s82, 24                                    // 000000004E60: 8F3D9852
	s_and_b32 s82, s82, 0xffffff                               // 000000004E64: 8652FF52 00FFFFFF
	s_mul_i32 s82, s82, s71                                    // 000000004E6C: 92524752
	s_mul_i32 s61, s60, s61                                    // 000000004E70: 923D3D3C
	s_add_u32 s82, s82, s61                                    // 000000004E74: 80523D52
	v_mul_lo_u32 v6, v5, s82                                   // 000000004E78: D2850006 0000A505
	v_readlane_b32 s82, v3, 1                                  // 000000004E80: D2890052 00010303
	s_lshr_b32 s61, s82, 24                                    // 000000004E88: 8F3D9852
	s_and_b32 s82, s82, 0xffffff                               // 000000004E8C: 8652FF52 00FFFFFF
	s_mul_i32 s82, s82, s71                                    // 000000004E94: 92524752
	s_mul_i32 s61, s60, s61                                    // 000000004E98: 923D3D3C
	s_add_u32 s82, s82, s61                                    // 000000004E9C: 80523D52
	v_mul_lo_u32 v7, v4, s82                                   // 000000004EA0: D2850007 0000A504
	v_add_u32_e32 v50, v6, v7                                  // 000000004EA8: 68640F06
	v_readlane_b32 s82, v3, 2                                  // 000000004EAC: D2890052 00010503
	s_lshr_b32 s61, s82, 24                                    // 000000004EB4: 8F3D9852
	s_and_b32 s82, s82, 0xffffff                               // 000000004EB8: 8652FF52 00FFFFFF
	s_mul_i32 s82, s82, s71                                    // 000000004EC0: 92524752
	s_mul_i32 s61, s60, s61                                    // 000000004EC4: 923D3D3C
	s_add_u32 s82, s82, s61                                    // 000000004EC8: 80523D52
	v_mul_lo_u32 v6, v5, s82                                   // 000000004ECC: D2850006 0000A505
	v_readlane_b32 s82, v3, 3                                  // 000000004ED4: D2890052 00010703
	s_lshr_b32 s61, s82, 24                                    // 000000004EDC: 8F3D9852
	s_and_b32 s82, s82, 0xffffff                               // 000000004EE0: 8652FF52 00FFFFFF
	s_mul_i32 s82, s82, s71                                    // 000000004EE8: 92524752
	s_mul_i32 s61, s60, s61                                    // 000000004EEC: 923D3D3C
	s_add_u32 s82, s82, s61                                    // 000000004EF0: 80523D52
	v_mul_lo_u32 v7, v4, s82                                   // 000000004EF4: D2850007 0000A504
	v_add_u32_e32 v51, v6, v7                                  // 000000004EFC: 68660F06
	v_readlane_b32 s82, v3, 4                                  // 000000004F00: D2890052 00010903
	s_lshr_b32 s61, s82, 24                                    // 000000004F08: 8F3D9852
	s_and_b32 s82, s82, 0xffffff                               // 000000004F0C: 8652FF52 00FFFFFF
	s_mul_i32 s82, s82, s71                                    // 000000004F14: 92524752
	s_mul_i32 s61, s60, s61                                    // 000000004F18: 923D3D3C
	s_add_u32 s82, s82, s61                                    // 000000004F1C: 80523D52
	v_mul_lo_u32 v6, v5, s82                                   // 000000004F20: D2850006 0000A505
	v_readlane_b32 s82, v3, 5                                  // 000000004F28: D2890052 00010B03
	s_lshr_b32 s61, s82, 24                                    // 000000004F30: 8F3D9852
	s_and_b32 s82, s82, 0xffffff                               // 000000004F34: 8652FF52 00FFFFFF
	s_mul_i32 s82, s82, s71                                    // 000000004F3C: 92524752
	s_mul_i32 s61, s60, s61                                    // 000000004F40: 923D3D3C
	s_add_u32 s82, s82, s61                                    // 000000004F44: 80523D52
	v_mul_lo_u32 v7, v4, s82                                   // 000000004F48: D2850007 0000A504
	v_add_u32_e32 v52, v6, v7                                  // 000000004F50: 68680F06
	v_readlane_b32 s82, v3, 6                                  // 000000004F54: D2890052 00010D03
	s_lshr_b32 s61, s82, 24                                    // 000000004F5C: 8F3D9852
	s_and_b32 s82, s82, 0xffffff                               // 000000004F60: 8652FF52 00FFFFFF
	s_mul_i32 s82, s82, s71                                    // 000000004F68: 92524752
	s_mul_i32 s61, s60, s61                                    // 000000004F6C: 923D3D3C
	s_add_u32 s82, s82, s61                                    // 000000004F70: 80523D52
	v_mul_lo_u32 v6, v5, s82                                   // 000000004F74: D2850006 0000A505
	v_readlane_b32 s82, v3, 7                                  // 000000004F7C: D2890052 00010F03
	s_lshr_b32 s61, s82, 24                                    // 000000004F84: 8F3D9852
	s_and_b32 s82, s82, 0xffffff                               // 000000004F88: 8652FF52 00FFFFFF
	s_mul_i32 s82, s82, s71                                    // 000000004F90: 92524752
	s_mul_i32 s61, s60, s61                                    // 000000004F94: 923D3D3C
	s_add_u32 s82, s82, s61                                    // 000000004F98: 80523D52
	v_mul_lo_u32 v7, v4, s82                                   // 000000004F9C: D2850007 0000A504
	v_add_u32_e32 v53, v6, v7                                  // 000000004FA4: 686A0F06
	v_readlane_b32 s82, v3, 8                                  // 000000004FA8: D2890052 00011103
	s_lshr_b32 s61, s82, 24                                    // 000000004FB0: 8F3D9852
	s_and_b32 s82, s82, 0xffffff                               // 000000004FB4: 8652FF52 00FFFFFF
	s_mul_i32 s82, s82, s71                                    // 000000004FBC: 92524752
	s_mul_i32 s61, s60, s61                                    // 000000004FC0: 923D3D3C
	s_add_u32 s82, s82, s61                                    // 000000004FC4: 80523D52
	v_mul_lo_u32 v6, v5, s82                                   // 000000004FC8: D2850006 0000A505
	v_readlane_b32 s82, v3, 9                                  // 000000004FD0: D2890052 00011303
	s_lshr_b32 s61, s82, 24                                    // 000000004FD8: 8F3D9852
	s_and_b32 s82, s82, 0xffffff                               // 000000004FDC: 8652FF52 00FFFFFF
	s_mul_i32 s82, s82, s71                                    // 000000004FE4: 92524752
	s_mul_i32 s61, s60, s61                                    // 000000004FE8: 923D3D3C
	s_add_u32 s82, s82, s61                                    // 000000004FEC: 80523D52
	v_mul_lo_u32 v7, v4, s82                                   // 000000004FF0: D2850007 0000A504
	v_add_u32_e32 v54, v6, v7                                  // 000000004FF8: 686C0F06
	v_readlane_b32 s82, v3, 10                                 // 000000004FFC: D2890052 00011503
	s_lshr_b32 s61, s82, 24                                    // 000000005004: 8F3D9852
	s_and_b32 s82, s82, 0xffffff                               // 000000005008: 8652FF52 00FFFFFF
	s_mul_i32 s82, s82, s71                                    // 000000005010: 92524752
	s_mul_i32 s61, s60, s61                                    // 000000005014: 923D3D3C
	s_add_u32 s82, s82, s61                                    // 000000005018: 80523D52
	v_mul_lo_u32 v6, v5, s82                                   // 00000000501C: D2850006 0000A505
	v_readlane_b32 s82, v3, 11                                 // 000000005024: D2890052 00011703
	s_lshr_b32 s61, s82, 24                                    // 00000000502C: 8F3D9852
	s_and_b32 s82, s82, 0xffffff                               // 000000005030: 8652FF52 00FFFFFF
	s_mul_i32 s82, s82, s71                                    // 000000005038: 92524752
	s_mul_i32 s61, s60, s61                                    // 00000000503C: 923D3D3C
	s_add_u32 s82, s82, s61                                    // 000000005040: 80523D52
	v_mul_lo_u32 v7, v4, s82                                   // 000000005044: D2850007 0000A504
	v_add_u32_e32 v55, v6, v7                                  // 00000000504C: 686E0F06
	v_readlane_b32 s82, v3, 12                                 // 000000005050: D2890052 00011903
	s_lshr_b32 s61, s82, 24                                    // 000000005058: 8F3D9852
	s_and_b32 s82, s82, 0xffffff                               // 00000000505C: 8652FF52 00FFFFFF
	s_mul_i32 s82, s82, s71                                    // 000000005064: 92524752
	s_mul_i32 s61, s60, s61                                    // 000000005068: 923D3D3C
	s_add_u32 s82, s82, s61                                    // 00000000506C: 80523D52
	v_mul_lo_u32 v6, v5, s82                                   // 000000005070: D2850006 0000A505
	v_readlane_b32 s82, v3, 13                                 // 000000005078: D2890052 00011B03
	s_lshr_b32 s61, s82, 24                                    // 000000005080: 8F3D9852
	s_and_b32 s82, s82, 0xffffff                               // 000000005084: 8652FF52 00FFFFFF
	s_mul_i32 s82, s82, s71                                    // 00000000508C: 92524752
	s_mul_i32 s61, s60, s61                                    // 000000005090: 923D3D3C
	s_add_u32 s82, s82, s61                                    // 000000005094: 80523D52
	v_mul_lo_u32 v7, v4, s82                                   // 000000005098: D2850007 0000A504
	v_add_u32_e32 v56, v6, v7                                  // 0000000050A0: 68700F06
	v_readlane_b32 s82, v3, 14                                 // 0000000050A4: D2890052 00011D03
	s_lshr_b32 s61, s82, 24                                    // 0000000050AC: 8F3D9852
	s_and_b32 s82, s82, 0xffffff                               // 0000000050B0: 8652FF52 00FFFFFF
	s_mul_i32 s82, s82, s71                                    // 0000000050B8: 92524752
	s_mul_i32 s61, s60, s61                                    // 0000000050BC: 923D3D3C
	s_add_u32 s82, s82, s61                                    // 0000000050C0: 80523D52
	v_mul_lo_u32 v6, v5, s82                                   // 0000000050C4: D2850006 0000A505
	v_readlane_b32 s82, v3, 15                                 // 0000000050CC: D2890052 00011F03
	s_lshr_b32 s61, s82, 24                                    // 0000000050D4: 8F3D9852
	s_and_b32 s82, s82, 0xffffff                               // 0000000050D8: 8652FF52 00FFFFFF
	s_mul_i32 s82, s82, s71                                    // 0000000050E0: 92524752
	s_mul_i32 s61, s60, s61                                    // 0000000050E4: 923D3D3C
	s_add_u32 s82, s82, s61                                    // 0000000050E8: 80523D52
	v_mul_lo_u32 v7, v4, s82                                   // 0000000050EC: D2850007 0000A504
	v_add_u32_e32 v57, v6, v7                                  // 0000000050F4: 68720F06
	v_readlane_b32 s82, v3, 16                                 // 0000000050F8: D2890052 00012103
	s_lshr_b32 s61, s82, 24                                    // 000000005100: 8F3D9852
	s_and_b32 s82, s82, 0xffffff                               // 000000005104: 8652FF52 00FFFFFF
	s_mul_i32 s82, s82, s71                                    // 00000000510C: 92524752
	s_mul_i32 s61, s60, s61                                    // 000000005110: 923D3D3C
	s_add_u32 s82, s82, s61                                    // 000000005114: 80523D52
	v_mul_lo_u32 v6, v5, s82                                   // 000000005118: D2850006 0000A505
	v_readlane_b32 s82, v3, 17                                 // 000000005120: D2890052 00012303
	s_lshr_b32 s61, s82, 24                                    // 000000005128: 8F3D9852
	s_and_b32 s82, s82, 0xffffff                               // 00000000512C: 8652FF52 00FFFFFF
	s_mul_i32 s82, s82, s71                                    // 000000005134: 92524752
	s_mul_i32 s61, s60, s61                                    // 000000005138: 923D3D3C
	s_add_u32 s82, s82, s61                                    // 00000000513C: 80523D52
	v_mul_lo_u32 v7, v4, s82                                   // 000000005140: D2850007 0000A504
	v_add_u32_e32 v58, v6, v7                                  // 000000005148: 68740F06
	v_readlane_b32 s82, v3, 18                                 // 00000000514C: D2890052 00012503
	s_lshr_b32 s61, s82, 24                                    // 000000005154: 8F3D9852
	s_and_b32 s82, s82, 0xffffff                               // 000000005158: 8652FF52 00FFFFFF
	s_mul_i32 s82, s82, s71                                    // 000000005160: 92524752
	s_mul_i32 s61, s60, s61                                    // 000000005164: 923D3D3C
	s_add_u32 s82, s82, s61                                    // 000000005168: 80523D52
	v_mul_lo_u32 v6, v5, s82                                   // 00000000516C: D2850006 0000A505
	v_readlane_b32 s82, v3, 19                                 // 000000005174: D2890052 00012703
	s_lshr_b32 s61, s82, 24                                    // 00000000517C: 8F3D9852
	s_and_b32 s82, s82, 0xffffff                               // 000000005180: 8652FF52 00FFFFFF
	s_mul_i32 s82, s82, s71                                    // 000000005188: 92524752
	s_mul_i32 s61, s60, s61                                    // 00000000518C: 923D3D3C
	s_add_u32 s82, s82, s61                                    // 000000005190: 80523D52
	v_mul_lo_u32 v7, v4, s82                                   // 000000005194: D2850007 0000A504
	v_add_u32_e32 v59, v6, v7                                  // 00000000519C: 68760F06
	v_and_b32_e32 v4, 31, v0                                   // 0000000051A0: 2608009F
	v_lshrrev_b32_e32 v4, 1, v4                                // 0000000051A4: 20080881
	s_cmp_eq_u32 s88, 0                                        // 0000000051A8: BF068058
	s_cselect_b32 s61, 2, 4                                    // 0000000051AC: 853D8482
	v_mul_lo_u32 v4, v4, s61                                   // 0000000051B0: D2850004 00007B04
	v_and_b32_e64 v5, v0, 1                                    // 0000000051B8: D1130005 00010300
	v_add_u32_e32 v4, v4, v5                                   // 0000000051C0: 68080B04
	v_lshlrev_b32_e32 v4, 2, v4                                // 0000000051C4: 24080882
	v_add_u32_e32 v50, v50, v4                                 // 0000000051C8: 68640932
	v_add_u32_e32 v51, v51, v4                                 // 0000000051CC: 68660933
	v_add_u32_e32 v52, v52, v4                                 // 0000000051D0: 68680934
	v_add_u32_e32 v53, v53, v4                                 // 0000000051D4: 686A0935
	v_add_u32_e32 v54, v54, v4                                 // 0000000051D8: 686C0936
	v_add_u32_e32 v55, v55, v4                                 // 0000000051DC: 686E0937
	v_add_u32_e32 v56, v56, v4                                 // 0000000051E0: 68700938
	v_add_u32_e32 v57, v57, v4                                 // 0000000051E4: 68720939
	v_add_u32_e32 v58, v58, v4                                 // 0000000051E8: 6874093A
	v_add_u32_e32 v59, v59, v4                                 // 0000000051EC: 6876093B
	s_waitcnt lgkmcnt(0)                                       // 0000000051F0: BF8CC07F
	s_barrier                                                  // 0000000051F4: BF8A0000
	ds_read_b32 v64, v21                                       // 0000000051F8: D86C0000 40000015
	ds_read_b32 v65, v21 offset:64                             // 000000005200: D86C0040 41000015
	ds_read_b32 v66, v21 offset:2176                           // 000000005208: D86C0880 42000015
	ds_read_b32 v67, v21 offset:2240                           // 000000005210: D86C08C0 43000015
	ds_read_b32 v68, v21 offset:4352                           // 000000005218: D86C1100 44000015
	ds_read_b32 v69, v21 offset:4416                           // 000000005220: D86C1140 45000015
	ds_read_b32 v70, v21 offset:6528                           // 000000005228: D86C1980 46000015
	ds_read_b32 v71, v21 offset:6592                           // 000000005230: D86C19C0 47000015
	ds_read_b32 v72, v21 offset:8704                           // 000000005238: D86C2200 48000015
	ds_read_b32 v73, v21 offset:8768                           // 000000005240: D86C2240 49000015
	s_waitcnt lgkmcnt(0)                                       // 000000005248: BF8CC07F
	s_mov_b32 s36, -1                                          // 00000000524C: BEA400C1
	s_mov_b32 s37, -1                                          // 000000005250: BEA500C1
	v_mov_b32_e32 v7, 0                                        // 000000005254: 7E0E0280
	s_or_b32 s9, s9, 0x40000                                   // 000000005258: 8709FF09 00040000
	s_mov_b64 exec, s[36:37]                                   // 000000005260: BEFE0124
	v_mov_b32_e32 v6, v50                                      // 000000005264: 7E0C0332
	s_mov_b64 s[60:61], 0                                      // 000000005268: BEBC0180
	v_readlane_b32 s82, v3, 0                                  // 00000000526C: D2890052 00010103
	s_and_b32 s82, s82, 0xffffff                               // 000000005274: 8652FF52 00FFFFFF
	s_cmp_lt_u32 s82, s66                                      // 00000000527C: BF0A4252
	s_cselect_b32 s20, s36, s60                                // 000000005280: 85143C24
	v_readlane_b32 s82, v3, 1                                  // 000000005284: D2890052 00010303
	s_and_b32 s82, s82, 0xffffff                               // 00000000528C: 8652FF52 00FFFFFF
	s_cmp_lt_u32 s82, s66                                      // 000000005294: BF0A4252
	s_cselect_b32 s21, s36, s60                                // 000000005298: 85153C24
	s_mov_b64 exec, s[20:21]                                   // 00000000529C: BEFE0114
	buffer_store_dword v64, v6, s[8:11], 0 offen               // 0000000052A0: E0701000 80024006
	s_mov_b64 exec, s[36:37]                                   // 0000000052A8: BEFE0124
	v_mov_b32_e32 v6, v51                                      // 0000000052AC: 7E0C0333
	s_mov_b64 s[60:61], 0                                      // 0000000052B0: BEBC0180
	v_readlane_b32 s82, v3, 2                                  // 0000000052B4: D2890052 00010503
	s_and_b32 s82, s82, 0xffffff                               // 0000000052BC: 8652FF52 00FFFFFF
	s_cmp_lt_u32 s82, s66                                      // 0000000052C4: BF0A4252
	s_cselect_b32 s20, s36, s60                                // 0000000052C8: 85143C24
	v_readlane_b32 s82, v3, 3                                  // 0000000052CC: D2890052 00010703
	s_and_b32 s82, s82, 0xffffff                               // 0000000052D4: 8652FF52 00FFFFFF
	s_cmp_lt_u32 s82, s66                                      // 0000000052DC: BF0A4252
	s_cselect_b32 s21, s36, s60                                // 0000000052E0: 85153C24
	s_mov_b64 exec, s[20:21]                                   // 0000000052E4: BEFE0114
	buffer_store_dword v65, v6, s[8:11], 0 offen               // 0000000052E8: E0701000 80024106
	s_mov_b64 exec, s[36:37]                                   // 0000000052F0: BEFE0124
	v_mov_b32_e32 v6, v52                                      // 0000000052F4: 7E0C0334
	s_mov_b64 s[60:61], 0                                      // 0000000052F8: BEBC0180
	v_readlane_b32 s82, v3, 4                                  // 0000000052FC: D2890052 00010903
	s_and_b32 s82, s82, 0xffffff                               // 000000005304: 8652FF52 00FFFFFF
	s_cmp_lt_u32 s82, s66                                      // 00000000530C: BF0A4252
	s_cselect_b32 s20, s36, s60                                // 000000005310: 85143C24
	v_readlane_b32 s82, v3, 5                                  // 000000005314: D2890052 00010B03
	s_and_b32 s82, s82, 0xffffff                               // 00000000531C: 8652FF52 00FFFFFF
	s_cmp_lt_u32 s82, s66                                      // 000000005324: BF0A4252
	s_cselect_b32 s21, s36, s60                                // 000000005328: 85153C24
	s_mov_b64 exec, s[20:21]                                   // 00000000532C: BEFE0114
	buffer_store_dword v66, v6, s[8:11], 0 offen               // 000000005330: E0701000 80024206
	s_mov_b64 exec, s[36:37]                                   // 000000005338: BEFE0124
	v_mov_b32_e32 v6, v53                                      // 00000000533C: 7E0C0335
	s_mov_b64 s[60:61], 0                                      // 000000005340: BEBC0180
	v_readlane_b32 s82, v3, 6                                  // 000000005344: D2890052 00010D03
	s_and_b32 s82, s82, 0xffffff                               // 00000000534C: 8652FF52 00FFFFFF
	s_cmp_lt_u32 s82, s66                                      // 000000005354: BF0A4252
	s_cselect_b32 s20, s36, s60                                // 000000005358: 85143C24
	v_readlane_b32 s82, v3, 7                                  // 00000000535C: D2890052 00010F03
	s_and_b32 s82, s82, 0xffffff                               // 000000005364: 8652FF52 00FFFFFF
	s_cmp_lt_u32 s82, s66                                      // 00000000536C: BF0A4252
	s_cselect_b32 s21, s36, s60                                // 000000005370: 85153C24
	s_mov_b64 exec, s[20:21]                                   // 000000005374: BEFE0114
	buffer_store_dword v67, v6, s[8:11], 0 offen               // 000000005378: E0701000 80024306
	s_mov_b64 exec, s[36:37]                                   // 000000005380: BEFE0124
	v_mov_b32_e32 v6, v54                                      // 000000005384: 7E0C0336
	s_mov_b64 s[60:61], 0                                      // 000000005388: BEBC0180
	v_readlane_b32 s82, v3, 8                                  // 00000000538C: D2890052 00011103
	s_and_b32 s82, s82, 0xffffff                               // 000000005394: 8652FF52 00FFFFFF
	s_cmp_lt_u32 s82, s66                                      // 00000000539C: BF0A4252
	s_cselect_b32 s20, s36, s60                                // 0000000053A0: 85143C24
	v_readlane_b32 s82, v3, 9                                  // 0000000053A4: D2890052 00011303
	s_and_b32 s82, s82, 0xffffff                               // 0000000053AC: 8652FF52 00FFFFFF
	s_cmp_lt_u32 s82, s66                                      // 0000000053B4: BF0A4252
	s_cselect_b32 s21, s36, s60                                // 0000000053B8: 85153C24
	s_mov_b64 exec, s[20:21]                                   // 0000000053BC: BEFE0114
	buffer_store_dword v68, v6, s[8:11], 0 offen               // 0000000053C0: E0701000 80024406
	s_mov_b64 exec, s[36:37]                                   // 0000000053C8: BEFE0124
	v_mov_b32_e32 v6, v55                                      // 0000000053CC: 7E0C0337
	s_mov_b64 s[60:61], 0                                      // 0000000053D0: BEBC0180
	v_readlane_b32 s82, v3, 10                                 // 0000000053D4: D2890052 00011503
	s_and_b32 s82, s82, 0xffffff                               // 0000000053DC: 8652FF52 00FFFFFF
	s_cmp_lt_u32 s82, s66                                      // 0000000053E4: BF0A4252
	s_cselect_b32 s20, s36, s60                                // 0000000053E8: 85143C24
	v_readlane_b32 s82, v3, 11                                 // 0000000053EC: D2890052 00011703
	s_and_b32 s82, s82, 0xffffff                               // 0000000053F4: 8652FF52 00FFFFFF
	s_cmp_lt_u32 s82, s66                                      // 0000000053FC: BF0A4252
	s_cselect_b32 s21, s36, s60                                // 000000005400: 85153C24
	s_mov_b64 exec, s[20:21]                                   // 000000005404: BEFE0114
	buffer_store_dword v69, v6, s[8:11], 0 offen               // 000000005408: E0701000 80024506
	s_mov_b64 exec, s[36:37]                                   // 000000005410: BEFE0124
	v_mov_b32_e32 v6, v56                                      // 000000005414: 7E0C0338
	s_mov_b64 s[60:61], 0                                      // 000000005418: BEBC0180
	v_readlane_b32 s82, v3, 12                                 // 00000000541C: D2890052 00011903
	s_and_b32 s82, s82, 0xffffff                               // 000000005424: 8652FF52 00FFFFFF
	s_cmp_lt_u32 s82, s66                                      // 00000000542C: BF0A4252
	s_cselect_b32 s20, s36, s60                                // 000000005430: 85143C24
	v_readlane_b32 s82, v3, 13                                 // 000000005434: D2890052 00011B03
	s_and_b32 s82, s82, 0xffffff                               // 00000000543C: 8652FF52 00FFFFFF
	s_cmp_lt_u32 s82, s66                                      // 000000005444: BF0A4252
	s_cselect_b32 s21, s36, s60                                // 000000005448: 85153C24
	s_mov_b64 exec, s[20:21]                                   // 00000000544C: BEFE0114
	buffer_store_dword v70, v6, s[8:11], 0 offen               // 000000005450: E0701000 80024606
	s_mov_b64 exec, s[36:37]                                   // 000000005458: BEFE0124
	v_mov_b32_e32 v6, v57                                      // 00000000545C: 7E0C0339
	s_mov_b64 s[60:61], 0                                      // 000000005460: BEBC0180
	v_readlane_b32 s82, v3, 14                                 // 000000005464: D2890052 00011D03
	s_and_b32 s82, s82, 0xffffff                               // 00000000546C: 8652FF52 00FFFFFF
	s_cmp_lt_u32 s82, s66                                      // 000000005474: BF0A4252
	s_cselect_b32 s20, s36, s60                                // 000000005478: 85143C24
	v_readlane_b32 s82, v3, 15                                 // 00000000547C: D2890052 00011F03
	s_and_b32 s82, s82, 0xffffff                               // 000000005484: 8652FF52 00FFFFFF
	s_cmp_lt_u32 s82, s66                                      // 00000000548C: BF0A4252
	s_cselect_b32 s21, s36, s60                                // 000000005490: 85153C24
	s_mov_b64 exec, s[20:21]                                   // 000000005494: BEFE0114
	buffer_store_dword v71, v6, s[8:11], 0 offen               // 000000005498: E0701000 80024706
	s_mov_b64 exec, s[36:37]                                   // 0000000054A0: BEFE0124
	v_mov_b32_e32 v6, v58                                      // 0000000054A4: 7E0C033A
	s_mov_b64 s[60:61], 0                                      // 0000000054A8: BEBC0180
	v_readlane_b32 s82, v3, 16                                 // 0000000054AC: D2890052 00012103
	s_and_b32 s82, s82, 0xffffff                               // 0000000054B4: 8652FF52 00FFFFFF
	s_cmp_lt_u32 s82, s66                                      // 0000000054BC: BF0A4252
	s_cselect_b32 s20, s36, s60                                // 0000000054C0: 85143C24
	v_readlane_b32 s82, v3, 17                                 // 0000000054C4: D2890052 00012303
	s_and_b32 s82, s82, 0xffffff                               // 0000000054CC: 8652FF52 00FFFFFF
	s_cmp_lt_u32 s82, s66                                      // 0000000054D4: BF0A4252
	s_cselect_b32 s21, s36, s60                                // 0000000054D8: 85153C24
	s_mov_b64 exec, s[20:21]                                   // 0000000054DC: BEFE0114
	buffer_store_dword v72, v6, s[8:11], 0 offen               // 0000000054E0: E0701000 80024806
	s_mov_b64 exec, s[36:37]                                   // 0000000054E8: BEFE0124
	v_mov_b32_e32 v6, v59                                      // 0000000054EC: 7E0C033B
	s_mov_b64 s[60:61], 0                                      // 0000000054F0: BEBC0180
	v_readlane_b32 s82, v3, 18                                 // 0000000054F4: D2890052 00012503
	s_and_b32 s82, s82, 0xffffff                               // 0000000054FC: 8652FF52 00FFFFFF
	s_cmp_lt_u32 s82, s66                                      // 000000005504: BF0A4252
	s_cselect_b32 s20, s36, s60                                // 000000005508: 85143C24
	v_readlane_b32 s82, v3, 19                                 // 00000000550C: D2890052 00012703
	s_and_b32 s82, s82, 0xffffff                               // 000000005514: 8652FF52 00FFFFFF
	s_cmp_lt_u32 s82, s66                                      // 00000000551C: BF0A4252
	s_cselect_b32 s21, s36, s60                                // 000000005520: 85153C24
	s_mov_b64 exec, s[20:21]                                   // 000000005524: BEFE0114
	buffer_store_dword v73, v6, s[8:11], 0 offen               // 000000005528: E0701000 80024906
	s_mov_b64 exec, s[36:37]                                   // 000000005530: BEFE0124
	s_branch label_1BB7                                        // 000000005534: BF8210E6

0000000000005538 <label_0ACE>:
	ds_write_b64 v20, v[64:65]                                 // 000000005538: D89A0000 00004014
	ds_write_b64 v20, v[68:69] offset:2176                     // 000000005540: D89A0880 00004414
	ds_write_b64 v20, v[72:73] offset:4352                     // 000000005548: D89A1100 00004814
	ds_write_b64 v20, v[76:77] offset:6528                     // 000000005550: D89A1980 00004C14
	ds_write_b64 v20, v[80:81] offset:8704                     // 000000005558: D89A2200 00005014
	v_lshrrev_b32_e32 v4, 5, v0                                // 000000005560: 20080085
	v_xor_b32_e32 v5, 1, v4                                    // 000000005564: 2A0A0881
	s_mul_i32 s60, s65, 2                                      // 000000005568: 923C8241
	s_cmp_eq_u32 s88, 0                                        // 00000000556C: BF068058
	s_cselect_b32 s61, 1, 4                                    // 000000005570: 853D8481
	s_mul_i32 s60, s61, s60                                    // 000000005574: 923C3C3D
	v_readlane_b32 s82, v3, 0                                  // 000000005578: D2890052 00010103
	s_lshr_b32 s61, s82, 24                                    // 000000005580: 8F3D9852
	s_and_b32 s82, s82, 0xffffff                               // 000000005584: 8652FF52 00FFFFFF
	s_mul_i32 s82, s82, s71                                    // 00000000558C: 92524752
	s_mul_i32 s61, s60, s61                                    // 000000005590: 923D3D3C
	s_add_u32 s82, s82, s61                                    // 000000005594: 80523D52
	v_mul_lo_u32 v6, v5, s82                                   // 000000005598: D2850006 0000A505
	v_readlane_b32 s82, v3, 1                                  // 0000000055A0: D2890052 00010303
	s_lshr_b32 s61, s82, 24                                    // 0000000055A8: 8F3D9852
	s_and_b32 s82, s82, 0xffffff                               // 0000000055AC: 8652FF52 00FFFFFF
	s_mul_i32 s82, s82, s71                                    // 0000000055B4: 92524752
	s_mul_i32 s61, s60, s61                                    // 0000000055B8: 923D3D3C
	s_add_u32 s82, s82, s61                                    // 0000000055BC: 80523D52
	v_mul_lo_u32 v7, v4, s82                                   // 0000000055C0: D2850007 0000A504
	v_add_u32_e32 v50, v6, v7                                  // 0000000055C8: 68640F06
	v_readlane_b32 s82, v3, 2                                  // 0000000055CC: D2890052 00010503
	s_lshr_b32 s61, s82, 24                                    // 0000000055D4: 8F3D9852
	s_and_b32 s82, s82, 0xffffff                               // 0000000055D8: 8652FF52 00FFFFFF
	s_mul_i32 s82, s82, s71                                    // 0000000055E0: 92524752
	s_mul_i32 s61, s60, s61                                    // 0000000055E4: 923D3D3C
	s_add_u32 s82, s82, s61                                    // 0000000055E8: 80523D52
	v_mul_lo_u32 v6, v5, s82                                   // 0000000055EC: D2850006 0000A505
	v_readlane_b32 s82, v3, 3                                  // 0000000055F4: D2890052 00010703
	s_lshr_b32 s61, s82, 24                                    // 0000000055FC: 8F3D9852
	s_and_b32 s82, s82, 0xffffff                               // 000000005600: 8652FF52 00FFFFFF
	s_mul_i32 s82, s82, s71                                    // 000000005608: 92524752
	s_mul_i32 s61, s60, s61                                    // 00000000560C: 923D3D3C
	s_add_u32 s82, s82, s61                                    // 000000005610: 80523D52
	v_mul_lo_u32 v7, v4, s82                                   // 000000005614: D2850007 0000A504
	v_add_u32_e32 v51, v6, v7                                  // 00000000561C: 68660F06
	v_readlane_b32 s82, v3, 4                                  // 000000005620: D2890052 00010903
	s_lshr_b32 s61, s82, 24                                    // 000000005628: 8F3D9852
	s_and_b32 s82, s82, 0xffffff                               // 00000000562C: 8652FF52 00FFFFFF
	s_mul_i32 s82, s82, s71                                    // 000000005634: 92524752
	s_mul_i32 s61, s60, s61                                    // 000000005638: 923D3D3C
	s_add_u32 s82, s82, s61                                    // 00000000563C: 80523D52
	v_mul_lo_u32 v6, v5, s82                                   // 000000005640: D2850006 0000A505
	v_readlane_b32 s82, v3, 5                                  // 000000005648: D2890052 00010B03
	s_lshr_b32 s61, s82, 24                                    // 000000005650: 8F3D9852
	s_and_b32 s82, s82, 0xffffff                               // 000000005654: 8652FF52 00FFFFFF
	s_mul_i32 s82, s82, s71                                    // 00000000565C: 92524752
	s_mul_i32 s61, s60, s61                                    // 000000005660: 923D3D3C
	s_add_u32 s82, s82, s61                                    // 000000005664: 80523D52
	v_mul_lo_u32 v7, v4, s82                                   // 000000005668: D2850007 0000A504
	v_add_u32_e32 v52, v6, v7                                  // 000000005670: 68680F06
	v_readlane_b32 s82, v3, 6                                  // 000000005674: D2890052 00010D03
	s_lshr_b32 s61, s82, 24                                    // 00000000567C: 8F3D9852
	s_and_b32 s82, s82, 0xffffff                               // 000000005680: 8652FF52 00FFFFFF
	s_mul_i32 s82, s82, s71                                    // 000000005688: 92524752
	s_mul_i32 s61, s60, s61                                    // 00000000568C: 923D3D3C
	s_add_u32 s82, s82, s61                                    // 000000005690: 80523D52
	v_mul_lo_u32 v6, v5, s82                                   // 000000005694: D2850006 0000A505
	v_readlane_b32 s82, v3, 7                                  // 00000000569C: D2890052 00010F03
	s_lshr_b32 s61, s82, 24                                    // 0000000056A4: 8F3D9852
	s_and_b32 s82, s82, 0xffffff                               // 0000000056A8: 8652FF52 00FFFFFF
	s_mul_i32 s82, s82, s71                                    // 0000000056B0: 92524752
	s_mul_i32 s61, s60, s61                                    // 0000000056B4: 923D3D3C
	s_add_u32 s82, s82, s61                                    // 0000000056B8: 80523D52
	v_mul_lo_u32 v7, v4, s82                                   // 0000000056BC: D2850007 0000A504
	v_add_u32_e32 v53, v6, v7                                  // 0000000056C4: 686A0F06
	v_readlane_b32 s82, v3, 8                                  // 0000000056C8: D2890052 00011103
	s_lshr_b32 s61, s82, 24                                    // 0000000056D0: 8F3D9852
	s_and_b32 s82, s82, 0xffffff                               // 0000000056D4: 8652FF52 00FFFFFF
	s_mul_i32 s82, s82, s71                                    // 0000000056DC: 92524752
	s_mul_i32 s61, s60, s61                                    // 0000000056E0: 923D3D3C
	s_add_u32 s82, s82, s61                                    // 0000000056E4: 80523D52
	v_mul_lo_u32 v6, v5, s82                                   // 0000000056E8: D2850006 0000A505
	v_readlane_b32 s82, v3, 9                                  // 0000000056F0: D2890052 00011303
	s_lshr_b32 s61, s82, 24                                    // 0000000056F8: 8F3D9852
	s_and_b32 s82, s82, 0xffffff                               // 0000000056FC: 8652FF52 00FFFFFF
	s_mul_i32 s82, s82, s71                                    // 000000005704: 92524752
	s_mul_i32 s61, s60, s61                                    // 000000005708: 923D3D3C
	s_add_u32 s82, s82, s61                                    // 00000000570C: 80523D52
	v_mul_lo_u32 v7, v4, s82                                   // 000000005710: D2850007 0000A504
	v_add_u32_e32 v54, v6, v7                                  // 000000005718: 686C0F06
	v_readlane_b32 s82, v3, 10                                 // 00000000571C: D2890052 00011503
	s_lshr_b32 s61, s82, 24                                    // 000000005724: 8F3D9852
	s_and_b32 s82, s82, 0xffffff                               // 000000005728: 8652FF52 00FFFFFF
	s_mul_i32 s82, s82, s71                                    // 000000005730: 92524752
	s_mul_i32 s61, s60, s61                                    // 000000005734: 923D3D3C
	s_add_u32 s82, s82, s61                                    // 000000005738: 80523D52
	v_mul_lo_u32 v6, v5, s82                                   // 00000000573C: D2850006 0000A505
	v_readlane_b32 s82, v3, 11                                 // 000000005744: D2890052 00011703
	s_lshr_b32 s61, s82, 24                                    // 00000000574C: 8F3D9852
	s_and_b32 s82, s82, 0xffffff                               // 000000005750: 8652FF52 00FFFFFF
	s_mul_i32 s82, s82, s71                                    // 000000005758: 92524752
	s_mul_i32 s61, s60, s61                                    // 00000000575C: 923D3D3C
	s_add_u32 s82, s82, s61                                    // 000000005760: 80523D52
	v_mul_lo_u32 v7, v4, s82                                   // 000000005764: D2850007 0000A504
	v_add_u32_e32 v55, v6, v7                                  // 00000000576C: 686E0F06
	v_readlane_b32 s82, v3, 12                                 // 000000005770: D2890052 00011903
	s_lshr_b32 s61, s82, 24                                    // 000000005778: 8F3D9852
	s_and_b32 s82, s82, 0xffffff                               // 00000000577C: 8652FF52 00FFFFFF
	s_mul_i32 s82, s82, s71                                    // 000000005784: 92524752
	s_mul_i32 s61, s60, s61                                    // 000000005788: 923D3D3C
	s_add_u32 s82, s82, s61                                    // 00000000578C: 80523D52
	v_mul_lo_u32 v6, v5, s82                                   // 000000005790: D2850006 0000A505
	v_readlane_b32 s82, v3, 13                                 // 000000005798: D2890052 00011B03
	s_lshr_b32 s61, s82, 24                                    // 0000000057A0: 8F3D9852
	s_and_b32 s82, s82, 0xffffff                               // 0000000057A4: 8652FF52 00FFFFFF
	s_mul_i32 s82, s82, s71                                    // 0000000057AC: 92524752
	s_mul_i32 s61, s60, s61                                    // 0000000057B0: 923D3D3C
	s_add_u32 s82, s82, s61                                    // 0000000057B4: 80523D52
	v_mul_lo_u32 v7, v4, s82                                   // 0000000057B8: D2850007 0000A504
	v_add_u32_e32 v56, v6, v7                                  // 0000000057C0: 68700F06
	v_readlane_b32 s82, v3, 14                                 // 0000000057C4: D2890052 00011D03
	s_lshr_b32 s61, s82, 24                                    // 0000000057CC: 8F3D9852
	s_and_b32 s82, s82, 0xffffff                               // 0000000057D0: 8652FF52 00FFFFFF
	s_mul_i32 s82, s82, s71                                    // 0000000057D8: 92524752
	s_mul_i32 s61, s60, s61                                    // 0000000057DC: 923D3D3C
	s_add_u32 s82, s82, s61                                    // 0000000057E0: 80523D52
	v_mul_lo_u32 v6, v5, s82                                   // 0000000057E4: D2850006 0000A505
	v_readlane_b32 s82, v3, 15                                 // 0000000057EC: D2890052 00011F03
	s_lshr_b32 s61, s82, 24                                    // 0000000057F4: 8F3D9852
	s_and_b32 s82, s82, 0xffffff                               // 0000000057F8: 8652FF52 00FFFFFF
	s_mul_i32 s82, s82, s71                                    // 000000005800: 92524752
	s_mul_i32 s61, s60, s61                                    // 000000005804: 923D3D3C
	s_add_u32 s82, s82, s61                                    // 000000005808: 80523D52
	v_mul_lo_u32 v7, v4, s82                                   // 00000000580C: D2850007 0000A504
	v_add_u32_e32 v57, v6, v7                                  // 000000005814: 68720F06
	v_readlane_b32 s82, v3, 16                                 // 000000005818: D2890052 00012103
	s_lshr_b32 s61, s82, 24                                    // 000000005820: 8F3D9852
	s_and_b32 s82, s82, 0xffffff                               // 000000005824: 8652FF52 00FFFFFF
	s_mul_i32 s82, s82, s71                                    // 00000000582C: 92524752
	s_mul_i32 s61, s60, s61                                    // 000000005830: 923D3D3C
	s_add_u32 s82, s82, s61                                    // 000000005834: 80523D52
	v_mul_lo_u32 v6, v5, s82                                   // 000000005838: D2850006 0000A505
	v_readlane_b32 s82, v3, 17                                 // 000000005840: D2890052 00012303
	s_lshr_b32 s61, s82, 24                                    // 000000005848: 8F3D9852
	s_and_b32 s82, s82, 0xffffff                               // 00000000584C: 8652FF52 00FFFFFF
	s_mul_i32 s82, s82, s71                                    // 000000005854: 92524752
	s_mul_i32 s61, s60, s61                                    // 000000005858: 923D3D3C
	s_add_u32 s82, s82, s61                                    // 00000000585C: 80523D52
	v_mul_lo_u32 v7, v4, s82                                   // 000000005860: D2850007 0000A504
	v_add_u32_e32 v58, v6, v7                                  // 000000005868: 68740F06
	v_readlane_b32 s82, v3, 18                                 // 00000000586C: D2890052 00012503
	s_lshr_b32 s61, s82, 24                                    // 000000005874: 8F3D9852
	s_and_b32 s82, s82, 0xffffff                               // 000000005878: 8652FF52 00FFFFFF
	s_mul_i32 s82, s82, s71                                    // 000000005880: 92524752
	s_mul_i32 s61, s60, s61                                    // 000000005884: 923D3D3C
	s_add_u32 s82, s82, s61                                    // 000000005888: 80523D52
	v_mul_lo_u32 v6, v5, s82                                   // 00000000588C: D2850006 0000A505
	v_readlane_b32 s82, v3, 19                                 // 000000005894: D2890052 00012703
	s_lshr_b32 s61, s82, 24                                    // 00000000589C: 8F3D9852
	s_and_b32 s82, s82, 0xffffff                               // 0000000058A0: 8652FF52 00FFFFFF
	s_mul_i32 s82, s82, s71                                    // 0000000058A8: 92524752
	s_mul_i32 s61, s60, s61                                    // 0000000058AC: 923D3D3C
	s_add_u32 s82, s82, s61                                    // 0000000058B0: 80523D52
	v_mul_lo_u32 v7, v4, s82                                   // 0000000058B4: D2850007 0000A504
	v_add_u32_e32 v59, v6, v7                                  // 0000000058BC: 68760F06
	v_and_b32_e32 v4, 31, v0                                   // 0000000058C0: 2608009F
	v_lshrrev_b32_e32 v4, 1, v4                                // 0000000058C4: 20080881
	s_cmp_eq_u32 s88, 0                                        // 0000000058C8: BF068058
	s_cselect_b32 s61, 2, 4                                    // 0000000058CC: 853D8482
	v_mul_lo_u32 v4, v4, s61                                   // 0000000058D0: D2850004 00007B04
	v_and_b32_e64 v5, v0, 1                                    // 0000000058D8: D1130005 00010300
	v_add_u32_e32 v4, v4, v5                                   // 0000000058E0: 68080B04
	v_lshlrev_b32_e32 v4, 2, v4                                // 0000000058E4: 24080882
	v_add_u32_e32 v50, v50, v4                                 // 0000000058E8: 68640932
	v_add_u32_e32 v51, v51, v4                                 // 0000000058EC: 68660933
	v_add_u32_e32 v52, v52, v4                                 // 0000000058F0: 68680934
	v_add_u32_e32 v53, v53, v4                                 // 0000000058F4: 686A0935
	v_add_u32_e32 v54, v54, v4                                 // 0000000058F8: 686C0936
	v_add_u32_e32 v55, v55, v4                                 // 0000000058FC: 686E0937
	v_add_u32_e32 v56, v56, v4                                 // 000000005900: 68700938
	v_add_u32_e32 v57, v57, v4                                 // 000000005904: 68720939
	v_add_u32_e32 v58, v58, v4                                 // 000000005908: 6874093A
	v_add_u32_e32 v59, v59, v4                                 // 00000000590C: 6876093B
	s_waitcnt lgkmcnt(0)                                       // 000000005910: BF8CC07F
	s_barrier                                                  // 000000005914: BF8A0000
	ds_read_b32 v64, v21                                       // 000000005918: D86C0000 40000015
	ds_read_b32 v65, v21 offset:64                             // 000000005920: D86C0040 41000015
	ds_read_b32 v68, v21 offset:2176                           // 000000005928: D86C0880 44000015
	ds_read_b32 v69, v21 offset:2240                           // 000000005930: D86C08C0 45000015
	ds_read_b32 v72, v21 offset:4352                           // 000000005938: D86C1100 48000015
	ds_read_b32 v73, v21 offset:4416                           // 000000005940: D86C1140 49000015
	ds_read_b32 v76, v21 offset:6528                           // 000000005948: D86C1980 4C000015
	ds_read_b32 v77, v21 offset:6592                           // 000000005950: D86C19C0 4D000015
	ds_read_b32 v80, v21 offset:8704                           // 000000005958: D86C2200 50000015
	ds_read_b32 v81, v21 offset:8768                           // 000000005960: D86C2240 51000015
	s_waitcnt lgkmcnt(0)                                       // 000000005968: BF8CC07F
	s_mov_b32 s36, -1                                          // 00000000596C: BEA400C1
	s_mov_b32 s37, -1                                          // 000000005970: BEA500C1
	v_mov_b32_e32 v7, 0                                        // 000000005974: 7E0E0280
	s_mov_b64 exec, s[36:37]                                   // 000000005978: BEFE0124
	v_mov_b32_e32 v6, v50                                      // 00000000597C: 7E0C0332
	s_mov_b64 s[60:61], 0                                      // 000000005980: BEBC0180
	v_readlane_b32 s82, v3, 0                                  // 000000005984: D2890052 00010103
	s_and_b32 s82, s82, 0xffffff                               // 00000000598C: 8652FF52 00FFFFFF
	s_cmp_lt_u32 s82, s66                                      // 000000005994: BF0A4252
	s_cselect_b32 s20, s36, s60                                // 000000005998: 85143C24
	v_readlane_b32 s82, v3, 1                                  // 00000000599C: D2890052 00010303
	s_and_b32 s82, s82, 0xffffff                               // 0000000059A4: 8652FF52 00FFFFFF
	s_cmp_lt_u32 s82, s66                                      // 0000000059AC: BF0A4252
	s_cselect_b32 s21, s36, s60                                // 0000000059B0: 85153C24
	s_mov_b64 exec, s[20:21]                                   // 0000000059B4: BEFE0114
	global_atomic_add_f32 v6, v64, s[8:9]                      // 0000000059B8: DD348000 00084006
	s_mov_b64 exec, s[36:37]                                   // 0000000059C0: BEFE0124
	v_mov_b32_e32 v6, v51                                      // 0000000059C4: 7E0C0333
	s_mov_b64 s[60:61], 0                                      // 0000000059C8: BEBC0180
	v_readlane_b32 s82, v3, 2                                  // 0000000059CC: D2890052 00010503
	s_and_b32 s82, s82, 0xffffff                               // 0000000059D4: 8652FF52 00FFFFFF
	s_cmp_lt_u32 s82, s66                                      // 0000000059DC: BF0A4252
	s_cselect_b32 s20, s36, s60                                // 0000000059E0: 85143C24
	v_readlane_b32 s82, v3, 3                                  // 0000000059E4: D2890052 00010703
	s_and_b32 s82, s82, 0xffffff                               // 0000000059EC: 8652FF52 00FFFFFF
	s_cmp_lt_u32 s82, s66                                      // 0000000059F4: BF0A4252
	s_cselect_b32 s21, s36, s60                                // 0000000059F8: 85153C24
	s_mov_b64 exec, s[20:21]                                   // 0000000059FC: BEFE0114
	global_atomic_add_f32 v6, v65, s[8:9]                      // 000000005A00: DD348000 00084106
	s_mov_b64 exec, s[36:37]                                   // 000000005A08: BEFE0124
	v_mov_b32_e32 v6, v52                                      // 000000005A0C: 7E0C0334
	s_mov_b64 s[60:61], 0                                      // 000000005A10: BEBC0180
	v_readlane_b32 s82, v3, 4                                  // 000000005A14: D2890052 00010903
	s_and_b32 s82, s82, 0xffffff                               // 000000005A1C: 8652FF52 00FFFFFF
	s_cmp_lt_u32 s82, s66                                      // 000000005A24: BF0A4252
	s_cselect_b32 s20, s36, s60                                // 000000005A28: 85143C24
	v_readlane_b32 s82, v3, 5                                  // 000000005A2C: D2890052 00010B03
	s_and_b32 s82, s82, 0xffffff                               // 000000005A34: 8652FF52 00FFFFFF
	s_cmp_lt_u32 s82, s66                                      // 000000005A3C: BF0A4252
	s_cselect_b32 s21, s36, s60                                // 000000005A40: 85153C24
	s_mov_b64 exec, s[20:21]                                   // 000000005A44: BEFE0114
	global_atomic_add_f32 v6, v68, s[8:9]                      // 000000005A48: DD348000 00084406
	s_mov_b64 exec, s[36:37]                                   // 000000005A50: BEFE0124
	v_mov_b32_e32 v6, v53                                      // 000000005A54: 7E0C0335
	s_mov_b64 s[60:61], 0                                      // 000000005A58: BEBC0180
	v_readlane_b32 s82, v3, 6                                  // 000000005A5C: D2890052 00010D03
	s_and_b32 s82, s82, 0xffffff                               // 000000005A64: 8652FF52 00FFFFFF
	s_cmp_lt_u32 s82, s66                                      // 000000005A6C: BF0A4252
	s_cselect_b32 s20, s36, s60                                // 000000005A70: 85143C24
	v_readlane_b32 s82, v3, 7                                  // 000000005A74: D2890052 00010F03
	s_and_b32 s82, s82, 0xffffff                               // 000000005A7C: 8652FF52 00FFFFFF
	s_cmp_lt_u32 s82, s66                                      // 000000005A84: BF0A4252
	s_cselect_b32 s21, s36, s60                                // 000000005A88: 85153C24
	s_mov_b64 exec, s[20:21]                                   // 000000005A8C: BEFE0114
	global_atomic_add_f32 v6, v69, s[8:9]                      // 000000005A90: DD348000 00084506
	s_mov_b64 exec, s[36:37]                                   // 000000005A98: BEFE0124
	v_mov_b32_e32 v6, v54                                      // 000000005A9C: 7E0C0336
	s_mov_b64 s[60:61], 0                                      // 000000005AA0: BEBC0180
	v_readlane_b32 s82, v3, 8                                  // 000000005AA4: D2890052 00011103
	s_and_b32 s82, s82, 0xffffff                               // 000000005AAC: 8652FF52 00FFFFFF
	s_cmp_lt_u32 s82, s66                                      // 000000005AB4: BF0A4252
	s_cselect_b32 s20, s36, s60                                // 000000005AB8: 85143C24
	v_readlane_b32 s82, v3, 9                                  // 000000005ABC: D2890052 00011303
	s_and_b32 s82, s82, 0xffffff                               // 000000005AC4: 8652FF52 00FFFFFF
	s_cmp_lt_u32 s82, s66                                      // 000000005ACC: BF0A4252
	s_cselect_b32 s21, s36, s60                                // 000000005AD0: 85153C24
	s_mov_b64 exec, s[20:21]                                   // 000000005AD4: BEFE0114
	global_atomic_add_f32 v6, v72, s[8:9]                      // 000000005AD8: DD348000 00084806
	s_mov_b64 exec, s[36:37]                                   // 000000005AE0: BEFE0124
	v_mov_b32_e32 v6, v55                                      // 000000005AE4: 7E0C0337
	s_mov_b64 s[60:61], 0                                      // 000000005AE8: BEBC0180
	v_readlane_b32 s82, v3, 10                                 // 000000005AEC: D2890052 00011503
	s_and_b32 s82, s82, 0xffffff                               // 000000005AF4: 8652FF52 00FFFFFF
	s_cmp_lt_u32 s82, s66                                      // 000000005AFC: BF0A4252
	s_cselect_b32 s20, s36, s60                                // 000000005B00: 85143C24
	v_readlane_b32 s82, v3, 11                                 // 000000005B04: D2890052 00011703
	s_and_b32 s82, s82, 0xffffff                               // 000000005B0C: 8652FF52 00FFFFFF
	s_cmp_lt_u32 s82, s66                                      // 000000005B14: BF0A4252
	s_cselect_b32 s21, s36, s60                                // 000000005B18: 85153C24
	s_mov_b64 exec, s[20:21]                                   // 000000005B1C: BEFE0114
	global_atomic_add_f32 v6, v73, s[8:9]                      // 000000005B20: DD348000 00084906
	s_mov_b64 exec, s[36:37]                                   // 000000005B28: BEFE0124
	v_mov_b32_e32 v6, v56                                      // 000000005B2C: 7E0C0338
	s_mov_b64 s[60:61], 0                                      // 000000005B30: BEBC0180
	v_readlane_b32 s82, v3, 12                                 // 000000005B34: D2890052 00011903
	s_and_b32 s82, s82, 0xffffff                               // 000000005B3C: 8652FF52 00FFFFFF
	s_cmp_lt_u32 s82, s66                                      // 000000005B44: BF0A4252
	s_cselect_b32 s20, s36, s60                                // 000000005B48: 85143C24
	v_readlane_b32 s82, v3, 13                                 // 000000005B4C: D2890052 00011B03
	s_and_b32 s82, s82, 0xffffff                               // 000000005B54: 8652FF52 00FFFFFF
	s_cmp_lt_u32 s82, s66                                      // 000000005B5C: BF0A4252
	s_cselect_b32 s21, s36, s60                                // 000000005B60: 85153C24
	s_mov_b64 exec, s[20:21]                                   // 000000005B64: BEFE0114
	global_atomic_add_f32 v6, v76, s[8:9]                      // 000000005B68: DD348000 00084C06
	s_mov_b64 exec, s[36:37]                                   // 000000005B70: BEFE0124
	v_mov_b32_e32 v6, v57                                      // 000000005B74: 7E0C0339
	s_mov_b64 s[60:61], 0                                      // 000000005B78: BEBC0180
	v_readlane_b32 s82, v3, 14                                 // 000000005B7C: D2890052 00011D03
	s_and_b32 s82, s82, 0xffffff                               // 000000005B84: 8652FF52 00FFFFFF
	s_cmp_lt_u32 s82, s66                                      // 000000005B8C: BF0A4252
	s_cselect_b32 s20, s36, s60                                // 000000005B90: 85143C24
	v_readlane_b32 s82, v3, 15                                 // 000000005B94: D2890052 00011F03
	s_and_b32 s82, s82, 0xffffff                               // 000000005B9C: 8652FF52 00FFFFFF
	s_cmp_lt_u32 s82, s66                                      // 000000005BA4: BF0A4252
	s_cselect_b32 s21, s36, s60                                // 000000005BA8: 85153C24
	s_mov_b64 exec, s[20:21]                                   // 000000005BAC: BEFE0114
	global_atomic_add_f32 v6, v77, s[8:9]                      // 000000005BB0: DD348000 00084D06
	s_mov_b64 exec, s[36:37]                                   // 000000005BB8: BEFE0124
	v_mov_b32_e32 v6, v58                                      // 000000005BBC: 7E0C033A
	s_mov_b64 s[60:61], 0                                      // 000000005BC0: BEBC0180
	v_readlane_b32 s82, v3, 16                                 // 000000005BC4: D2890052 00012103
	s_and_b32 s82, s82, 0xffffff                               // 000000005BCC: 8652FF52 00FFFFFF
	s_cmp_lt_u32 s82, s66                                      // 000000005BD4: BF0A4252
	s_cselect_b32 s20, s36, s60                                // 000000005BD8: 85143C24
	v_readlane_b32 s82, v3, 17                                 // 000000005BDC: D2890052 00012303
	s_and_b32 s82, s82, 0xffffff                               // 000000005BE4: 8652FF52 00FFFFFF
	s_cmp_lt_u32 s82, s66                                      // 000000005BEC: BF0A4252
	s_cselect_b32 s21, s36, s60                                // 000000005BF0: 85153C24
	s_mov_b64 exec, s[20:21]                                   // 000000005BF4: BEFE0114
	global_atomic_add_f32 v6, v80, s[8:9]                      // 000000005BF8: DD348000 00085006
	s_mov_b64 exec, s[36:37]                                   // 000000005C00: BEFE0124
	v_mov_b32_e32 v6, v59                                      // 000000005C04: 7E0C033B
	s_mov_b64 s[60:61], 0                                      // 000000005C08: BEBC0180
	v_readlane_b32 s82, v3, 18                                 // 000000005C0C: D2890052 00012503
	s_and_b32 s82, s82, 0xffffff                               // 000000005C14: 8652FF52 00FFFFFF
	s_cmp_lt_u32 s82, s66                                      // 000000005C1C: BF0A4252
	s_cselect_b32 s20, s36, s60                                // 000000005C20: 85143C24
	v_readlane_b32 s82, v3, 19                                 // 000000005C24: D2890052 00012703
	s_and_b32 s82, s82, 0xffffff                               // 000000005C2C: 8652FF52 00FFFFFF
	s_cmp_lt_u32 s82, s66                                      // 000000005C34: BF0A4252
	s_cselect_b32 s21, s36, s60                                // 000000005C38: 85153C24
	s_mov_b64 exec, s[20:21]                                   // 000000005C3C: BEFE0114
	global_atomic_add_f32 v6, v81, s[8:9]                      // 000000005C40: DD348000 00085106
	s_mov_b64 exec, s[36:37]                                   // 000000005C48: BEFE0124
	ds_write_b64 v20, v[66:67]                                 // 000000005C4C: D89A0000 00004214
	ds_write_b64 v20, v[70:71] offset:2176                     // 000000005C54: D89A0880 00004614
	ds_write_b64 v20, v[74:75] offset:4352                     // 000000005C5C: D89A1100 00004A14
	ds_write_b64 v20, v[78:79] offset:6528                     // 000000005C64: D89A1980 00004E14
	ds_write_b64 v20, v[82:83] offset:8704                     // 000000005C6C: D89A2200 00005214
	s_waitcnt lgkmcnt(0)                                       // 000000005C74: BF8CC07F
	s_barrier                                                  // 000000005C78: BF8A0000
	ds_read_b32 v66, v21                                       // 000000005C7C: D86C0000 42000015
	ds_read_b32 v67, v21 offset:64                             // 000000005C84: D86C0040 43000015
	ds_read_b32 v70, v21 offset:2176                           // 000000005C8C: D86C0880 46000015
	ds_read_b32 v71, v21 offset:2240                           // 000000005C94: D86C08C0 47000015
	ds_read_b32 v74, v21 offset:4352                           // 000000005C9C: D86C1100 4A000015
	ds_read_b32 v75, v21 offset:4416                           // 000000005CA4: D86C1140 4B000015
	ds_read_b32 v78, v21 offset:6528                           // 000000005CAC: D86C1980 4E000015
	ds_read_b32 v79, v21 offset:6592                           // 000000005CB4: D86C19C0 4F000015
	ds_read_b32 v82, v21 offset:8704                           // 000000005CBC: D86C2200 52000015
	ds_read_b32 v83, v21 offset:8768                           // 000000005CC4: D86C2240 53000015
	s_waitcnt lgkmcnt(0)                                       // 000000005CCC: BF8CC07F
	v_mov_b32_e32 v7, 0                                        // 000000005CD0: 7E0E0280
	s_mov_b64 exec, s[36:37]                                   // 000000005CD4: BEFE0124
	v_mov_b32_e32 v6, v50                                      // 000000005CD8: 7E0C0332
	s_mov_b64 s[60:61], 0                                      // 000000005CDC: BEBC0180
	v_readlane_b32 s82, v3, 0                                  // 000000005CE0: D2890052 00010103
	s_and_b32 s82, s82, 0xffffff                               // 000000005CE8: 8652FF52 00FFFFFF
	s_cmp_lt_u32 s82, s66                                      // 000000005CF0: BF0A4252
	s_cselect_b32 s20, s36, s60                                // 000000005CF4: 85143C24
	v_readlane_b32 s82, v3, 1                                  // 000000005CF8: D2890052 00010303
	s_and_b32 s82, s82, 0xffffff                               // 000000005D00: 8652FF52 00FFFFFF
	s_cmp_lt_u32 s82, s66                                      // 000000005D08: BF0A4252
	s_cselect_b32 s21, s36, s60                                // 000000005D0C: 85153C24
	s_mov_b64 exec, s[20:21]                                   // 000000005D10: BEFE0114
	global_atomic_add_f32 v6, v66, s[8:9] offset:8             // 000000005D14: DD348008 00084206
	s_mov_b64 exec, s[36:37]                                   // 000000005D1C: BEFE0124
	v_mov_b32_e32 v6, v51                                      // 000000005D20: 7E0C0333
	s_mov_b64 s[60:61], 0                                      // 000000005D24: BEBC0180
	v_readlane_b32 s82, v3, 2                                  // 000000005D28: D2890052 00010503
	s_and_b32 s82, s82, 0xffffff                               // 000000005D30: 8652FF52 00FFFFFF
	s_cmp_lt_u32 s82, s66                                      // 000000005D38: BF0A4252
	s_cselect_b32 s20, s36, s60                                // 000000005D3C: 85143C24
	v_readlane_b32 s82, v3, 3                                  // 000000005D40: D2890052 00010703
	s_and_b32 s82, s82, 0xffffff                               // 000000005D48: 8652FF52 00FFFFFF
	s_cmp_lt_u32 s82, s66                                      // 000000005D50: BF0A4252
	s_cselect_b32 s21, s36, s60                                // 000000005D54: 85153C24
	s_mov_b64 exec, s[20:21]                                   // 000000005D58: BEFE0114
	global_atomic_add_f32 v6, v67, s[8:9] offset:8             // 000000005D5C: DD348008 00084306
	s_mov_b64 exec, s[36:37]                                   // 000000005D64: BEFE0124
	v_mov_b32_e32 v6, v52                                      // 000000005D68: 7E0C0334
	s_mov_b64 s[60:61], 0                                      // 000000005D6C: BEBC0180
	v_readlane_b32 s82, v3, 4                                  // 000000005D70: D2890052 00010903
	s_and_b32 s82, s82, 0xffffff                               // 000000005D78: 8652FF52 00FFFFFF
	s_cmp_lt_u32 s82, s66                                      // 000000005D80: BF0A4252
	s_cselect_b32 s20, s36, s60                                // 000000005D84: 85143C24
	v_readlane_b32 s82, v3, 5                                  // 000000005D88: D2890052 00010B03
	s_and_b32 s82, s82, 0xffffff                               // 000000005D90: 8652FF52 00FFFFFF
	s_cmp_lt_u32 s82, s66                                      // 000000005D98: BF0A4252
	s_cselect_b32 s21, s36, s60                                // 000000005D9C: 85153C24
	s_mov_b64 exec, s[20:21]                                   // 000000005DA0: BEFE0114
	global_atomic_add_f32 v6, v70, s[8:9] offset:8             // 000000005DA4: DD348008 00084606
	s_mov_b64 exec, s[36:37]                                   // 000000005DAC: BEFE0124
	v_mov_b32_e32 v6, v53                                      // 000000005DB0: 7E0C0335
	s_mov_b64 s[60:61], 0                                      // 000000005DB4: BEBC0180
	v_readlane_b32 s82, v3, 6                                  // 000000005DB8: D2890052 00010D03
	s_and_b32 s82, s82, 0xffffff                               // 000000005DC0: 8652FF52 00FFFFFF
	s_cmp_lt_u32 s82, s66                                      // 000000005DC8: BF0A4252
	s_cselect_b32 s20, s36, s60                                // 000000005DCC: 85143C24
	v_readlane_b32 s82, v3, 7                                  // 000000005DD0: D2890052 00010F03
	s_and_b32 s82, s82, 0xffffff                               // 000000005DD8: 8652FF52 00FFFFFF
	s_cmp_lt_u32 s82, s66                                      // 000000005DE0: BF0A4252
	s_cselect_b32 s21, s36, s60                                // 000000005DE4: 85153C24
	s_mov_b64 exec, s[20:21]                                   // 000000005DE8: BEFE0114
	global_atomic_add_f32 v6, v71, s[8:9] offset:8             // 000000005DEC: DD348008 00084706
	s_mov_b64 exec, s[36:37]                                   // 000000005DF4: BEFE0124
	v_mov_b32_e32 v6, v54                                      // 000000005DF8: 7E0C0336
	s_mov_b64 s[60:61], 0                                      // 000000005DFC: BEBC0180
	v_readlane_b32 s82, v3, 8                                  // 000000005E00: D2890052 00011103
	s_and_b32 s82, s82, 0xffffff                               // 000000005E08: 8652FF52 00FFFFFF
	s_cmp_lt_u32 s82, s66                                      // 000000005E10: BF0A4252
	s_cselect_b32 s20, s36, s60                                // 000000005E14: 85143C24
	v_readlane_b32 s82, v3, 9                                  // 000000005E18: D2890052 00011303
	s_and_b32 s82, s82, 0xffffff                               // 000000005E20: 8652FF52 00FFFFFF
	s_cmp_lt_u32 s82, s66                                      // 000000005E28: BF0A4252
	s_cselect_b32 s21, s36, s60                                // 000000005E2C: 85153C24
	s_mov_b64 exec, s[20:21]                                   // 000000005E30: BEFE0114
	global_atomic_add_f32 v6, v74, s[8:9] offset:8             // 000000005E34: DD348008 00084A06
	s_mov_b64 exec, s[36:37]                                   // 000000005E3C: BEFE0124
	v_mov_b32_e32 v6, v55                                      // 000000005E40: 7E0C0337
	s_mov_b64 s[60:61], 0                                      // 000000005E44: BEBC0180
	v_readlane_b32 s82, v3, 10                                 // 000000005E48: D2890052 00011503
	s_and_b32 s82, s82, 0xffffff                               // 000000005E50: 8652FF52 00FFFFFF
	s_cmp_lt_u32 s82, s66                                      // 000000005E58: BF0A4252
	s_cselect_b32 s20, s36, s60                                // 000000005E5C: 85143C24
	v_readlane_b32 s82, v3, 11                                 // 000000005E60: D2890052 00011703
	s_and_b32 s82, s82, 0xffffff                               // 000000005E68: 8652FF52 00FFFFFF
	s_cmp_lt_u32 s82, s66                                      // 000000005E70: BF0A4252
	s_cselect_b32 s21, s36, s60                                // 000000005E74: 85153C24
	s_mov_b64 exec, s[20:21]                                   // 000000005E78: BEFE0114
	global_atomic_add_f32 v6, v75, s[8:9] offset:8             // 000000005E7C: DD348008 00084B06
	s_mov_b64 exec, s[36:37]                                   // 000000005E84: BEFE0124
	v_mov_b32_e32 v6, v56                                      // 000000005E88: 7E0C0338
	s_mov_b64 s[60:61], 0                                      // 000000005E8C: BEBC0180
	v_readlane_b32 s82, v3, 12                                 // 000000005E90: D2890052 00011903
	s_and_b32 s82, s82, 0xffffff                               // 000000005E98: 8652FF52 00FFFFFF
	s_cmp_lt_u32 s82, s66                                      // 000000005EA0: BF0A4252
	s_cselect_b32 s20, s36, s60                                // 000000005EA4: 85143C24
	v_readlane_b32 s82, v3, 13                                 // 000000005EA8: D2890052 00011B03
	s_and_b32 s82, s82, 0xffffff                               // 000000005EB0: 8652FF52 00FFFFFF
	s_cmp_lt_u32 s82, s66                                      // 000000005EB8: BF0A4252
	s_cselect_b32 s21, s36, s60                                // 000000005EBC: 85153C24
	s_mov_b64 exec, s[20:21]                                   // 000000005EC0: BEFE0114
	global_atomic_add_f32 v6, v78, s[8:9] offset:8             // 000000005EC4: DD348008 00084E06
	s_mov_b64 exec, s[36:37]                                   // 000000005ECC: BEFE0124
	v_mov_b32_e32 v6, v57                                      // 000000005ED0: 7E0C0339
	s_mov_b64 s[60:61], 0                                      // 000000005ED4: BEBC0180
	v_readlane_b32 s82, v3, 14                                 // 000000005ED8: D2890052 00011D03
	s_and_b32 s82, s82, 0xffffff                               // 000000005EE0: 8652FF52 00FFFFFF
	s_cmp_lt_u32 s82, s66                                      // 000000005EE8: BF0A4252
	s_cselect_b32 s20, s36, s60                                // 000000005EEC: 85143C24
	v_readlane_b32 s82, v3, 15                                 // 000000005EF0: D2890052 00011F03
	s_and_b32 s82, s82, 0xffffff                               // 000000005EF8: 8652FF52 00FFFFFF
	s_cmp_lt_u32 s82, s66                                      // 000000005F00: BF0A4252
	s_cselect_b32 s21, s36, s60                                // 000000005F04: 85153C24
	s_mov_b64 exec, s[20:21]                                   // 000000005F08: BEFE0114
	global_atomic_add_f32 v6, v79, s[8:9] offset:8             // 000000005F0C: DD348008 00084F06
	s_mov_b64 exec, s[36:37]                                   // 000000005F14: BEFE0124
	v_mov_b32_e32 v6, v58                                      // 000000005F18: 7E0C033A
	s_mov_b64 s[60:61], 0                                      // 000000005F1C: BEBC0180
	v_readlane_b32 s82, v3, 16                                 // 000000005F20: D2890052 00012103
	s_and_b32 s82, s82, 0xffffff                               // 000000005F28: 8652FF52 00FFFFFF
	s_cmp_lt_u32 s82, s66                                      // 000000005F30: BF0A4252
	s_cselect_b32 s20, s36, s60                                // 000000005F34: 85143C24
	v_readlane_b32 s82, v3, 17                                 // 000000005F38: D2890052 00012303
	s_and_b32 s82, s82, 0xffffff                               // 000000005F40: 8652FF52 00FFFFFF
	s_cmp_lt_u32 s82, s66                                      // 000000005F48: BF0A4252
	s_cselect_b32 s21, s36, s60                                // 000000005F4C: 85153C24
	s_mov_b64 exec, s[20:21]                                   // 000000005F50: BEFE0114
	global_atomic_add_f32 v6, v82, s[8:9] offset:8             // 000000005F54: DD348008 00085206
	s_mov_b64 exec, s[36:37]                                   // 000000005F5C: BEFE0124
	v_mov_b32_e32 v6, v59                                      // 000000005F60: 7E0C033B
	s_mov_b64 s[60:61], 0                                      // 000000005F64: BEBC0180
	v_readlane_b32 s82, v3, 18                                 // 000000005F68: D2890052 00012503
	s_and_b32 s82, s82, 0xffffff                               // 000000005F70: 8652FF52 00FFFFFF
	s_cmp_lt_u32 s82, s66                                      // 000000005F78: BF0A4252
	s_cselect_b32 s20, s36, s60                                // 000000005F7C: 85143C24
	v_readlane_b32 s82, v3, 19                                 // 000000005F80: D2890052 00012703
	s_and_b32 s82, s82, 0xffffff                               // 000000005F88: 8652FF52 00FFFFFF
	s_cmp_lt_u32 s82, s66                                      // 000000005F90: BF0A4252
	s_cselect_b32 s21, s36, s60                                // 000000005F94: 85153C24
	s_mov_b64 exec, s[20:21]                                   // 000000005F98: BEFE0114
	global_atomic_add_f32 v6, v83, s[8:9] offset:8             // 000000005F9C: DD348008 00085306
	s_mov_b64 exec, s[36:37]                                   // 000000005FA4: BEFE0124
	ds_write_b64 v20, v[84:85]                                 // 000000005FA8: D89A0000 00005414
	ds_write_b64 v20, v[88:89] offset:2176                     // 000000005FB0: D89A0880 00005814
	ds_write_b64 v20, v[92:93] offset:4352                     // 000000005FB8: D89A1100 00005C14
	ds_write_b64 v20, v[96:97] offset:6528                     // 000000005FC0: D89A1980 00006014
	ds_write_b64 v20, v[100:101] offset:8704                   // 000000005FC8: D89A2200 00006414
	s_waitcnt lgkmcnt(0)                                       // 000000005FD0: BF8CC07F
	s_barrier                                                  // 000000005FD4: BF8A0000
	ds_read_b32 v84, v21                                       // 000000005FD8: D86C0000 54000015
	ds_read_b32 v85, v21 offset:64                             // 000000005FE0: D86C0040 55000015
	ds_read_b32 v88, v21 offset:2176                           // 000000005FE8: D86C0880 58000015
	ds_read_b32 v89, v21 offset:2240                           // 000000005FF0: D86C08C0 59000015
	ds_read_b32 v92, v21 offset:4352                           // 000000005FF8: D86C1100 5C000015
	ds_read_b32 v93, v21 offset:4416                           // 000000006000: D86C1140 5D000015
	ds_read_b32 v96, v21 offset:6528                           // 000000006008: D86C1980 60000015
	ds_read_b32 v97, v21 offset:6592                           // 000000006010: D86C19C0 61000015
	ds_read_b32 v100, v21 offset:8704                          // 000000006018: D86C2200 64000015
	ds_read_b32 v101, v21 offset:8768                          // 000000006020: D86C2240 65000015
	s_mul_i32 s60, s65, 4                                      // 000000006028: 923C8441
	s_add_u32 s8, s60, s8                                      // 00000000602C: 8008083C
	s_addc_u32 s9, 0, s9                                       // 000000006030: 82090980
	s_waitcnt lgkmcnt(0)                                       // 000000006034: BF8CC07F
	v_mov_b32_e32 v7, 0                                        // 000000006038: 7E0E0280
	s_mov_b64 exec, s[36:37]                                   // 00000000603C: BEFE0124
	v_mov_b32_e32 v6, v50                                      // 000000006040: 7E0C0332
	s_mov_b64 s[60:61], 0                                      // 000000006044: BEBC0180
	v_readlane_b32 s82, v3, 0                                  // 000000006048: D2890052 00010103
	s_and_b32 s82, s82, 0xffffff                               // 000000006050: 8652FF52 00FFFFFF
	s_cmp_lt_u32 s82, s66                                      // 000000006058: BF0A4252
	s_cselect_b32 s20, s36, s60                                // 00000000605C: 85143C24
	v_readlane_b32 s82, v3, 1                                  // 000000006060: D2890052 00010303
	s_and_b32 s82, s82, 0xffffff                               // 000000006068: 8652FF52 00FFFFFF
	s_cmp_lt_u32 s82, s66                                      // 000000006070: BF0A4252
	s_cselect_b32 s21, s36, s60                                // 000000006074: 85153C24
	s_mov_b64 exec, s[20:21]                                   // 000000006078: BEFE0114
	global_atomic_add_f32 v6, v84, s[8:9]                      // 00000000607C: DD348000 00085406
	s_mov_b64 exec, s[36:37]                                   // 000000006084: BEFE0124
	v_mov_b32_e32 v6, v51                                      // 000000006088: 7E0C0333
	s_mov_b64 s[60:61], 0                                      // 00000000608C: BEBC0180
	v_readlane_b32 s82, v3, 2                                  // 000000006090: D2890052 00010503
	s_and_b32 s82, s82, 0xffffff                               // 000000006098: 8652FF52 00FFFFFF
	s_cmp_lt_u32 s82, s66                                      // 0000000060A0: BF0A4252
	s_cselect_b32 s20, s36, s60                                // 0000000060A4: 85143C24
	v_readlane_b32 s82, v3, 3                                  // 0000000060A8: D2890052 00010703
	s_and_b32 s82, s82, 0xffffff                               // 0000000060B0: 8652FF52 00FFFFFF
	s_cmp_lt_u32 s82, s66                                      // 0000000060B8: BF0A4252
	s_cselect_b32 s21, s36, s60                                // 0000000060BC: 85153C24
	s_mov_b64 exec, s[20:21]                                   // 0000000060C0: BEFE0114
	global_atomic_add_f32 v6, v85, s[8:9]                      // 0000000060C4: DD348000 00085506
	s_mov_b64 exec, s[36:37]                                   // 0000000060CC: BEFE0124
	v_mov_b32_e32 v6, v52                                      // 0000000060D0: 7E0C0334
	s_mov_b64 s[60:61], 0                                      // 0000000060D4: BEBC0180
	v_readlane_b32 s82, v3, 4                                  // 0000000060D8: D2890052 00010903
	s_and_b32 s82, s82, 0xffffff                               // 0000000060E0: 8652FF52 00FFFFFF
	s_cmp_lt_u32 s82, s66                                      // 0000000060E8: BF0A4252
	s_cselect_b32 s20, s36, s60                                // 0000000060EC: 85143C24
	v_readlane_b32 s82, v3, 5                                  // 0000000060F0: D2890052 00010B03
	s_and_b32 s82, s82, 0xffffff                               // 0000000060F8: 8652FF52 00FFFFFF
	s_cmp_lt_u32 s82, s66                                      // 000000006100: BF0A4252
	s_cselect_b32 s21, s36, s60                                // 000000006104: 85153C24
	s_mov_b64 exec, s[20:21]                                   // 000000006108: BEFE0114
	global_atomic_add_f32 v6, v88, s[8:9]                      // 00000000610C: DD348000 00085806
	s_mov_b64 exec, s[36:37]                                   // 000000006114: BEFE0124
	v_mov_b32_e32 v6, v53                                      // 000000006118: 7E0C0335
	s_mov_b64 s[60:61], 0                                      // 00000000611C: BEBC0180
	v_readlane_b32 s82, v3, 6                                  // 000000006120: D2890052 00010D03
	s_and_b32 s82, s82, 0xffffff                               // 000000006128: 8652FF52 00FFFFFF
	s_cmp_lt_u32 s82, s66                                      // 000000006130: BF0A4252
	s_cselect_b32 s20, s36, s60                                // 000000006134: 85143C24
	v_readlane_b32 s82, v3, 7                                  // 000000006138: D2890052 00010F03
	s_and_b32 s82, s82, 0xffffff                               // 000000006140: 8652FF52 00FFFFFF
	s_cmp_lt_u32 s82, s66                                      // 000000006148: BF0A4252
	s_cselect_b32 s21, s36, s60                                // 00000000614C: 85153C24
	s_mov_b64 exec, s[20:21]                                   // 000000006150: BEFE0114
	global_atomic_add_f32 v6, v89, s[8:9]                      // 000000006154: DD348000 00085906
	s_mov_b64 exec, s[36:37]                                   // 00000000615C: BEFE0124
	v_mov_b32_e32 v6, v54                                      // 000000006160: 7E0C0336
	s_mov_b64 s[60:61], 0                                      // 000000006164: BEBC0180
	v_readlane_b32 s82, v3, 8                                  // 000000006168: D2890052 00011103
	s_and_b32 s82, s82, 0xffffff                               // 000000006170: 8652FF52 00FFFFFF
	s_cmp_lt_u32 s82, s66                                      // 000000006178: BF0A4252
	s_cselect_b32 s20, s36, s60                                // 00000000617C: 85143C24
	v_readlane_b32 s82, v3, 9                                  // 000000006180: D2890052 00011303
	s_and_b32 s82, s82, 0xffffff                               // 000000006188: 8652FF52 00FFFFFF
	s_cmp_lt_u32 s82, s66                                      // 000000006190: BF0A4252
	s_cselect_b32 s21, s36, s60                                // 000000006194: 85153C24
	s_mov_b64 exec, s[20:21]                                   // 000000006198: BEFE0114
	global_atomic_add_f32 v6, v92, s[8:9]                      // 00000000619C: DD348000 00085C06
	s_mov_b64 exec, s[36:37]                                   // 0000000061A4: BEFE0124
	v_mov_b32_e32 v6, v55                                      // 0000000061A8: 7E0C0337
	s_mov_b64 s[60:61], 0                                      // 0000000061AC: BEBC0180
	v_readlane_b32 s82, v3, 10                                 // 0000000061B0: D2890052 00011503
	s_and_b32 s82, s82, 0xffffff                               // 0000000061B8: 8652FF52 00FFFFFF
	s_cmp_lt_u32 s82, s66                                      // 0000000061C0: BF0A4252
	s_cselect_b32 s20, s36, s60                                // 0000000061C4: 85143C24
	v_readlane_b32 s82, v3, 11                                 // 0000000061C8: D2890052 00011703
	s_and_b32 s82, s82, 0xffffff                               // 0000000061D0: 8652FF52 00FFFFFF
	s_cmp_lt_u32 s82, s66                                      // 0000000061D8: BF0A4252
	s_cselect_b32 s21, s36, s60                                // 0000000061DC: 85153C24
	s_mov_b64 exec, s[20:21]                                   // 0000000061E0: BEFE0114
	global_atomic_add_f32 v6, v93, s[8:9]                      // 0000000061E4: DD348000 00085D06
	s_mov_b64 exec, s[36:37]                                   // 0000000061EC: BEFE0124
	v_mov_b32_e32 v6, v56                                      // 0000000061F0: 7E0C0338
	s_mov_b64 s[60:61], 0                                      // 0000000061F4: BEBC0180
	v_readlane_b32 s82, v3, 12                                 // 0000000061F8: D2890052 00011903
	s_and_b32 s82, s82, 0xffffff                               // 000000006200: 8652FF52 00FFFFFF
	s_cmp_lt_u32 s82, s66                                      // 000000006208: BF0A4252
	s_cselect_b32 s20, s36, s60                                // 00000000620C: 85143C24
	v_readlane_b32 s82, v3, 13                                 // 000000006210: D2890052 00011B03
	s_and_b32 s82, s82, 0xffffff                               // 000000006218: 8652FF52 00FFFFFF
	s_cmp_lt_u32 s82, s66                                      // 000000006220: BF0A4252
	s_cselect_b32 s21, s36, s60                                // 000000006224: 85153C24
	s_mov_b64 exec, s[20:21]                                   // 000000006228: BEFE0114
	global_atomic_add_f32 v6, v96, s[8:9]                      // 00000000622C: DD348000 00086006
	s_mov_b64 exec, s[36:37]                                   // 000000006234: BEFE0124
	v_mov_b32_e32 v6, v57                                      // 000000006238: 7E0C0339
	s_mov_b64 s[60:61], 0                                      // 00000000623C: BEBC0180
	v_readlane_b32 s82, v3, 14                                 // 000000006240: D2890052 00011D03
	s_and_b32 s82, s82, 0xffffff                               // 000000006248: 8652FF52 00FFFFFF
	s_cmp_lt_u32 s82, s66                                      // 000000006250: BF0A4252
	s_cselect_b32 s20, s36, s60                                // 000000006254: 85143C24
	v_readlane_b32 s82, v3, 15                                 // 000000006258: D2890052 00011F03
	s_and_b32 s82, s82, 0xffffff                               // 000000006260: 8652FF52 00FFFFFF
	s_cmp_lt_u32 s82, s66                                      // 000000006268: BF0A4252
	s_cselect_b32 s21, s36, s60                                // 00000000626C: 85153C24
	s_mov_b64 exec, s[20:21]                                   // 000000006270: BEFE0114
	global_atomic_add_f32 v6, v97, s[8:9]                      // 000000006274: DD348000 00086106
	s_mov_b64 exec, s[36:37]                                   // 00000000627C: BEFE0124
	v_mov_b32_e32 v6, v58                                      // 000000006280: 7E0C033A
	s_mov_b64 s[60:61], 0                                      // 000000006284: BEBC0180
	v_readlane_b32 s82, v3, 16                                 // 000000006288: D2890052 00012103
	s_and_b32 s82, s82, 0xffffff                               // 000000006290: 8652FF52 00FFFFFF
	s_cmp_lt_u32 s82, s66                                      // 000000006298: BF0A4252
	s_cselect_b32 s20, s36, s60                                // 00000000629C: 85143C24
	v_readlane_b32 s82, v3, 17                                 // 0000000062A0: D2890052 00012303
	s_and_b32 s82, s82, 0xffffff                               // 0000000062A8: 8652FF52 00FFFFFF
	s_cmp_lt_u32 s82, s66                                      // 0000000062B0: BF0A4252
	s_cselect_b32 s21, s36, s60                                // 0000000062B4: 85153C24
	s_mov_b64 exec, s[20:21]                                   // 0000000062B8: BEFE0114
	global_atomic_add_f32 v6, v100, s[8:9]                     // 0000000062BC: DD348000 00086406
	s_mov_b64 exec, s[36:37]                                   // 0000000062C4: BEFE0124
	v_mov_b32_e32 v6, v59                                      // 0000000062C8: 7E0C033B
	s_mov_b64 s[60:61], 0                                      // 0000000062CC: BEBC0180
	v_readlane_b32 s82, v3, 18                                 // 0000000062D0: D2890052 00012503
	s_and_b32 s82, s82, 0xffffff                               // 0000000062D8: 8652FF52 00FFFFFF
	s_cmp_lt_u32 s82, s66                                      // 0000000062E0: BF0A4252
	s_cselect_b32 s20, s36, s60                                // 0000000062E4: 85143C24
	v_readlane_b32 s82, v3, 19                                 // 0000000062E8: D2890052 00012703
	s_and_b32 s82, s82, 0xffffff                               // 0000000062F0: 8652FF52 00FFFFFF
	s_cmp_lt_u32 s82, s66                                      // 0000000062F8: BF0A4252
	s_cselect_b32 s21, s36, s60                                // 0000000062FC: 85153C24
	s_mov_b64 exec, s[20:21]                                   // 000000006300: BEFE0114
	global_atomic_add_f32 v6, v101, s[8:9]                     // 000000006304: DD348000 00086506
	s_mov_b64 exec, s[36:37]                                   // 00000000630C: BEFE0124
	ds_write_b64 v20, v[86:87]                                 // 000000006310: D89A0000 00005614
	ds_write_b64 v20, v[90:91] offset:2176                     // 000000006318: D89A0880 00005A14
	ds_write_b64 v20, v[94:95] offset:4352                     // 000000006320: D89A1100 00005E14
	ds_write_b64 v20, v[98:99] offset:6528                     // 000000006328: D89A1980 00006214
	ds_write_b64 v20, v[102:103] offset:8704                   // 000000006330: D89A2200 00006614
	s_waitcnt lgkmcnt(0)                                       // 000000006338: BF8CC07F
	s_barrier                                                  // 00000000633C: BF8A0000
	ds_read_b32 v86, v21                                       // 000000006340: D86C0000 56000015
	ds_read_b32 v87, v21 offset:64                             // 000000006348: D86C0040 57000015
	ds_read_b32 v90, v21 offset:2176                           // 000000006350: D86C0880 5A000015
	ds_read_b32 v91, v21 offset:2240                           // 000000006358: D86C08C0 5B000015
	ds_read_b32 v94, v21 offset:4352                           // 000000006360: D86C1100 5E000015
	ds_read_b32 v95, v21 offset:4416                           // 000000006368: D86C1140 5F000015
	ds_read_b32 v98, v21 offset:6528                           // 000000006370: D86C1980 62000015
	ds_read_b32 v99, v21 offset:6592                           // 000000006378: D86C19C0 63000015
	ds_read_b32 v102, v21 offset:8704                          // 000000006380: D86C2200 66000015
	ds_read_b32 v103, v21 offset:8768                          // 000000006388: D86C2240 67000015
	s_waitcnt lgkmcnt(0)                                       // 000000006390: BF8CC07F
	v_mov_b32_e32 v7, 0                                        // 000000006394: 7E0E0280
	s_mov_b64 exec, s[36:37]                                   // 000000006398: BEFE0124
	v_mov_b32_e32 v6, v50                                      // 00000000639C: 7E0C0332
	s_mov_b64 s[60:61], 0                                      // 0000000063A0: BEBC0180
	v_readlane_b32 s82, v3, 0                                  // 0000000063A4: D2890052 00010103
	s_and_b32 s82, s82, 0xffffff                               // 0000000063AC: 8652FF52 00FFFFFF
	s_cmp_lt_u32 s82, s66                                      // 0000000063B4: BF0A4252
	s_cselect_b32 s20, s36, s60                                // 0000000063B8: 85143C24
	v_readlane_b32 s82, v3, 1                                  // 0000000063BC: D2890052 00010303
	s_and_b32 s82, s82, 0xffffff                               // 0000000063C4: 8652FF52 00FFFFFF
	s_cmp_lt_u32 s82, s66                                      // 0000000063CC: BF0A4252
	s_cselect_b32 s21, s36, s60                                // 0000000063D0: 85153C24
	s_mov_b64 exec, s[20:21]                                   // 0000000063D4: BEFE0114
	global_atomic_add_f32 v6, v86, s[8:9] offset:8             // 0000000063D8: DD348008 00085606
	s_mov_b64 exec, s[36:37]                                   // 0000000063E0: BEFE0124
	v_mov_b32_e32 v6, v51                                      // 0000000063E4: 7E0C0333
	s_mov_b64 s[60:61], 0                                      // 0000000063E8: BEBC0180
	v_readlane_b32 s82, v3, 2                                  // 0000000063EC: D2890052 00010503
	s_and_b32 s82, s82, 0xffffff                               // 0000000063F4: 8652FF52 00FFFFFF
	s_cmp_lt_u32 s82, s66                                      // 0000000063FC: BF0A4252
	s_cselect_b32 s20, s36, s60                                // 000000006400: 85143C24
	v_readlane_b32 s82, v3, 3                                  // 000000006404: D2890052 00010703
	s_and_b32 s82, s82, 0xffffff                               // 00000000640C: 8652FF52 00FFFFFF
	s_cmp_lt_u32 s82, s66                                      // 000000006414: BF0A4252
	s_cselect_b32 s21, s36, s60                                // 000000006418: 85153C24
	s_mov_b64 exec, s[20:21]                                   // 00000000641C: BEFE0114
	global_atomic_add_f32 v6, v87, s[8:9] offset:8             // 000000006420: DD348008 00085706
	s_mov_b64 exec, s[36:37]                                   // 000000006428: BEFE0124
	v_mov_b32_e32 v6, v52                                      // 00000000642C: 7E0C0334
	s_mov_b64 s[60:61], 0                                      // 000000006430: BEBC0180
	v_readlane_b32 s82, v3, 4                                  // 000000006434: D2890052 00010903
	s_and_b32 s82, s82, 0xffffff                               // 00000000643C: 8652FF52 00FFFFFF
	s_cmp_lt_u32 s82, s66                                      // 000000006444: BF0A4252
	s_cselect_b32 s20, s36, s60                                // 000000006448: 85143C24
	v_readlane_b32 s82, v3, 5                                  // 00000000644C: D2890052 00010B03
	s_and_b32 s82, s82, 0xffffff                               // 000000006454: 8652FF52 00FFFFFF
	s_cmp_lt_u32 s82, s66                                      // 00000000645C: BF0A4252
	s_cselect_b32 s21, s36, s60                                // 000000006460: 85153C24
	s_mov_b64 exec, s[20:21]                                   // 000000006464: BEFE0114
	global_atomic_add_f32 v6, v90, s[8:9] offset:8             // 000000006468: DD348008 00085A06
	s_mov_b64 exec, s[36:37]                                   // 000000006470: BEFE0124
	v_mov_b32_e32 v6, v53                                      // 000000006474: 7E0C0335
	s_mov_b64 s[60:61], 0                                      // 000000006478: BEBC0180
	v_readlane_b32 s82, v3, 6                                  // 00000000647C: D2890052 00010D03
	s_and_b32 s82, s82, 0xffffff                               // 000000006484: 8652FF52 00FFFFFF
	s_cmp_lt_u32 s82, s66                                      // 00000000648C: BF0A4252
	s_cselect_b32 s20, s36, s60                                // 000000006490: 85143C24
	v_readlane_b32 s82, v3, 7                                  // 000000006494: D2890052 00010F03
	s_and_b32 s82, s82, 0xffffff                               // 00000000649C: 8652FF52 00FFFFFF
	s_cmp_lt_u32 s82, s66                                      // 0000000064A4: BF0A4252
	s_cselect_b32 s21, s36, s60                                // 0000000064A8: 85153C24
	s_mov_b64 exec, s[20:21]                                   // 0000000064AC: BEFE0114
	global_atomic_add_f32 v6, v91, s[8:9] offset:8             // 0000000064B0: DD348008 00085B06
	s_mov_b64 exec, s[36:37]                                   // 0000000064B8: BEFE0124
	v_mov_b32_e32 v6, v54                                      // 0000000064BC: 7E0C0336
	s_mov_b64 s[60:61], 0                                      // 0000000064C0: BEBC0180
	v_readlane_b32 s82, v3, 8                                  // 0000000064C4: D2890052 00011103
	s_and_b32 s82, s82, 0xffffff                               // 0000000064CC: 8652FF52 00FFFFFF
	s_cmp_lt_u32 s82, s66                                      // 0000000064D4: BF0A4252
	s_cselect_b32 s20, s36, s60                                // 0000000064D8: 85143C24
	v_readlane_b32 s82, v3, 9                                  // 0000000064DC: D2890052 00011303
	s_and_b32 s82, s82, 0xffffff                               // 0000000064E4: 8652FF52 00FFFFFF
	s_cmp_lt_u32 s82, s66                                      // 0000000064EC: BF0A4252
	s_cselect_b32 s21, s36, s60                                // 0000000064F0: 85153C24
	s_mov_b64 exec, s[20:21]                                   // 0000000064F4: BEFE0114
	global_atomic_add_f32 v6, v94, s[8:9] offset:8             // 0000000064F8: DD348008 00085E06
	s_mov_b64 exec, s[36:37]                                   // 000000006500: BEFE0124
	v_mov_b32_e32 v6, v55                                      // 000000006504: 7E0C0337
	s_mov_b64 s[60:61], 0                                      // 000000006508: BEBC0180
	v_readlane_b32 s82, v3, 10                                 // 00000000650C: D2890052 00011503
	s_and_b32 s82, s82, 0xffffff                               // 000000006514: 8652FF52 00FFFFFF
	s_cmp_lt_u32 s82, s66                                      // 00000000651C: BF0A4252
	s_cselect_b32 s20, s36, s60                                // 000000006520: 85143C24
	v_readlane_b32 s82, v3, 11                                 // 000000006524: D2890052 00011703
	s_and_b32 s82, s82, 0xffffff                               // 00000000652C: 8652FF52 00FFFFFF
	s_cmp_lt_u32 s82, s66                                      // 000000006534: BF0A4252
	s_cselect_b32 s21, s36, s60                                // 000000006538: 85153C24
	s_mov_b64 exec, s[20:21]                                   // 00000000653C: BEFE0114
	global_atomic_add_f32 v6, v95, s[8:9] offset:8             // 000000006540: DD348008 00085F06
	s_mov_b64 exec, s[36:37]                                   // 000000006548: BEFE0124
	v_mov_b32_e32 v6, v56                                      // 00000000654C: 7E0C0338
	s_mov_b64 s[60:61], 0                                      // 000000006550: BEBC0180
	v_readlane_b32 s82, v3, 12                                 // 000000006554: D2890052 00011903
	s_and_b32 s82, s82, 0xffffff                               // 00000000655C: 8652FF52 00FFFFFF
	s_cmp_lt_u32 s82, s66                                      // 000000006564: BF0A4252
	s_cselect_b32 s20, s36, s60                                // 000000006568: 85143C24
	v_readlane_b32 s82, v3, 13                                 // 00000000656C: D2890052 00011B03
	s_and_b32 s82, s82, 0xffffff                               // 000000006574: 8652FF52 00FFFFFF
	s_cmp_lt_u32 s82, s66                                      // 00000000657C: BF0A4252
	s_cselect_b32 s21, s36, s60                                // 000000006580: 85153C24
	s_mov_b64 exec, s[20:21]                                   // 000000006584: BEFE0114
	global_atomic_add_f32 v6, v98, s[8:9] offset:8             // 000000006588: DD348008 00086206
	s_mov_b64 exec, s[36:37]                                   // 000000006590: BEFE0124
	v_mov_b32_e32 v6, v57                                      // 000000006594: 7E0C0339
	s_mov_b64 s[60:61], 0                                      // 000000006598: BEBC0180
	v_readlane_b32 s82, v3, 14                                 // 00000000659C: D2890052 00011D03
	s_and_b32 s82, s82, 0xffffff                               // 0000000065A4: 8652FF52 00FFFFFF
	s_cmp_lt_u32 s82, s66                                      // 0000000065AC: BF0A4252
	s_cselect_b32 s20, s36, s60                                // 0000000065B0: 85143C24
	v_readlane_b32 s82, v3, 15                                 // 0000000065B4: D2890052 00011F03
	s_and_b32 s82, s82, 0xffffff                               // 0000000065BC: 8652FF52 00FFFFFF
	s_cmp_lt_u32 s82, s66                                      // 0000000065C4: BF0A4252
	s_cselect_b32 s21, s36, s60                                // 0000000065C8: 85153C24
	s_mov_b64 exec, s[20:21]                                   // 0000000065CC: BEFE0114
	global_atomic_add_f32 v6, v99, s[8:9] offset:8             // 0000000065D0: DD348008 00086306
	s_mov_b64 exec, s[36:37]                                   // 0000000065D8: BEFE0124
	v_mov_b32_e32 v6, v58                                      // 0000000065DC: 7E0C033A
	s_mov_b64 s[60:61], 0                                      // 0000000065E0: BEBC0180
	v_readlane_b32 s82, v3, 16                                 // 0000000065E4: D2890052 00012103
	s_and_b32 s82, s82, 0xffffff                               // 0000000065EC: 8652FF52 00FFFFFF
	s_cmp_lt_u32 s82, s66                                      // 0000000065F4: BF0A4252
	s_cselect_b32 s20, s36, s60                                // 0000000065F8: 85143C24
	v_readlane_b32 s82, v3, 17                                 // 0000000065FC: D2890052 00012303
	s_and_b32 s82, s82, 0xffffff                               // 000000006604: 8652FF52 00FFFFFF
	s_cmp_lt_u32 s82, s66                                      // 00000000660C: BF0A4252
	s_cselect_b32 s21, s36, s60                                // 000000006610: 85153C24
	s_mov_b64 exec, s[20:21]                                   // 000000006614: BEFE0114
	global_atomic_add_f32 v6, v102, s[8:9] offset:8            // 000000006618: DD348008 00086606
	s_mov_b64 exec, s[36:37]                                   // 000000006620: BEFE0124
	v_mov_b32_e32 v6, v59                                      // 000000006624: 7E0C033B
	s_mov_b64 s[60:61], 0                                      // 000000006628: BEBC0180
	v_readlane_b32 s82, v3, 18                                 // 00000000662C: D2890052 00012503
	s_and_b32 s82, s82, 0xffffff                               // 000000006634: 8652FF52 00FFFFFF
	s_cmp_lt_u32 s82, s66                                      // 00000000663C: BF0A4252
	s_cselect_b32 s20, s36, s60                                // 000000006640: 85143C24
	v_readlane_b32 s82, v3, 19                                 // 000000006644: D2890052 00012703
	s_and_b32 s82, s82, 0xffffff                               // 00000000664C: 8652FF52 00FFFFFF
	s_cmp_lt_u32 s82, s66                                      // 000000006654: BF0A4252
	s_cselect_b32 s21, s36, s60                                // 000000006658: 85153C24
	s_mov_b64 exec, s[20:21]                                   // 00000000665C: BEFE0114
	global_atomic_add_f32 v6, v103, s[8:9] offset:8            // 000000006660: DD348008 00086706
	s_mov_b64 exec, s[36:37]                                   // 000000006668: BEFE0124
	s_branch label_1BB7                                        // 00000000666C: BF820C98

0000000000006670 <label_0F1F>:
	s_waitcnt vmcnt(12) lgkmcnt(0)                             // 000000006670: BF8C007C
	v_mfma_f32_16x16x32_fp8_fp8 v[64:67], a[80:81], a[0:1], v[64:67]// 000000006674: D3F30040 1D020150
	buffer_load_dwordx4 a[96:99], v60, s[24:27], 0 offen       // 00000000667C: E05C1000 8086603C
	v_mfma_f32_16x16x32_fp8_fp8 v[64:67], a[82:83], a[2:3], v[64:67]// 000000006684: D3F30040 1D020552
	v_mfma_f32_16x16x32_fp8_fp8 v[64:67], a[84:85], a[4:5], v[64:67]// 00000000668C: D3F30040 1D020954
	v_mfma_f32_16x16x32_fp8_fp8 v[64:67], a[86:87], a[6:7], v[64:67]// 000000006694: D3F30040 1D020D56
	v_mfma_f32_16x16x32_fp8_fp8 v[68:71], a[80:81], a[8:9], v[68:71]// 00000000669C: D3F30044 1D121150
	buffer_load_dwordx4 a[100:103], v60, s[24:27], 0 offen offset:1024// 0000000066A4: E05C1400 8086643C
	buffer_load_dword v50, s[20:23], 0 offen lds               // 0000000066AC: E0511000 80050032
	s_add_u32 m0, 0x100, s50                                   // 0000000066B4: 807C32FF 00000100
	v_mfma_f32_16x16x32_fp8_fp8 v[68:71], a[82:83], a[10:11], v[68:71]// 0000000066BC: D3F30044 1D121552
	v_mfma_f32_16x16x32_fp8_fp8 v[68:71], a[84:85], a[12:13], v[68:71]// 0000000066C4: D3F30044 1D121954
	buffer_load_dword v51, s[20:23], 0 offen lds               // 0000000066CC: E0511000 80050033
	s_add_u32 m0, 0x200, s50                                   // 0000000066D4: 807C32FF 00000200
	v_mfma_f32_16x16x32_fp8_fp8 v[68:71], a[86:87], a[14:15], v[68:71]// 0000000066DC: D3F30044 1D121D56
	v_mfma_f32_16x16x32_fp8_fp8 v[72:75], a[80:81], a[16:17], v[72:75]// 0000000066E4: D3F30048 1D222150
	buffer_load_dword v52, s[20:23], 0 offen lds               // 0000000066EC: E0511000 80050034
	s_add_u32 m0, 0x300, s50                                   // 0000000066F4: 807C32FF 00000300
	v_mfma_f32_16x16x32_fp8_fp8 v[72:75], a[82:83], a[18:19], v[72:75]// 0000000066FC: D3F30048 1D222552
	v_mfma_f32_16x16x32_fp8_fp8 v[72:75], a[84:85], a[20:21], v[72:75]// 000000006704: D3F30048 1D222954
	buffer_load_dword v53, s[20:23], 0 offen lds               // 00000000670C: E0511000 80050035
	s_add_u32 m0, 0x400, s50                                   // 000000006714: 807C32FF 00000400
	v_mfma_f32_16x16x32_fp8_fp8 v[72:75], a[86:87], a[22:23], v[72:75]// 00000000671C: D3F30048 1D222D56
	v_mfma_f32_16x16x32_fp8_fp8 v[76:79], a[80:81], a[24:25], v[76:79]// 000000006724: D3F3004C 1D323150
	buffer_load_dword v54, s[20:23], 0 offen lds               // 00000000672C: E0511000 80050036
	s_add_u32 m0, 0x500, s50                                   // 000000006734: 807C32FF 00000500
	v_mfma_f32_16x16x32_fp8_fp8 v[76:79], a[82:83], a[26:27], v[76:79]// 00000000673C: D3F3004C 1D323552
	v_mfma_f32_16x16x32_fp8_fp8 v[76:79], a[84:85], a[28:29], v[76:79]// 000000006744: D3F3004C 1D323954
	buffer_load_dword v55, s[20:23], 0 offen lds               // 00000000674C: E0511000 80050037
	s_add_u32 m0, 0x600, s50                                   // 000000006754: 807C32FF 00000600
	v_mfma_f32_16x16x32_fp8_fp8 v[76:79], a[86:87], a[30:31], v[76:79]// 00000000675C: D3F3004C 1D323D56
	v_mfma_f32_16x16x32_fp8_fp8 v[80:83], a[80:81], a[32:33], v[80:83]// 000000006764: D3F30050 1D424150
	buffer_load_dword v56, s[20:23], 0 offen lds               // 00000000676C: E0511000 80050038
	s_add_u32 m0, 0x700, s50                                   // 000000006774: 807C32FF 00000700
	v_mfma_f32_16x16x32_fp8_fp8 v[80:83], a[82:83], a[34:35], v[80:83]// 00000000677C: D3F30050 1D424552
	v_mfma_f32_16x16x32_fp8_fp8 v[80:83], a[84:85], a[36:37], v[80:83]// 000000006784: D3F30050 1D424954
	buffer_load_dword v57, s[20:23], 0 offen lds               // 00000000678C: E0511000 80050039
	s_add_u32 m0, 0x800, s50                                   // 000000006794: 807C32FF 00000800
	v_mfma_f32_16x16x32_fp8_fp8 v[80:83], a[86:87], a[38:39], v[80:83]// 00000000679C: D3F30050 1D424D56
	buffer_load_dword v58, s[20:23], 0 offen lds               // 0000000067A4: E0511000 8005003A
	s_add_u32 m0, 0x900, s50                                   // 0000000067AC: 807C32FF 00000900
	buffer_load_dword v59, s[20:23], 0 offen lds               // 0000000067B4: E0511000 8005003B
	s_add_u32 m0, 0, s48                                       // 0000000067BC: 807C3080
	s_waitcnt vmcnt(12)                                        // 0000000067C0: BF8C0F7C
	s_barrier                                                  // 0000000067C4: BF8A0000
	v_mfma_f32_16x16x32_fp8_fp8 v[84:87], a[88:89], a[0:1], v[84:87]// 0000000067C8: D3F30054 1D520158
	buffer_load_dwordx4 a[80:83], v60, s[84:87], 0 offen       // 0000000067D0: E05C1000 8095503C
	v_mfma_f32_16x16x32_fp8_fp8 v[84:87], a[90:91], a[2:3], v[84:87]// 0000000067D8: D3F30054 1D52055A
	v_mfma_f32_16x16x32_fp8_fp8 v[84:87], a[92:93], a[4:5], v[84:87]// 0000000067E0: D3F30054 1D52095C
	ds_read_b128 a[40:43], v2 offset:10368                     // 0000000067E8: DBFE2880 28000002
	ds_read_b128 a[44:47], v2 offset:10432                     // 0000000067F0: DBFE28C0 2C000002
	v_mfma_f32_16x16x32_fp8_fp8 v[84:87], a[94:95], a[6:7], v[84:87]// 0000000067F8: D3F30054 1D520D5E
	v_mfma_f32_16x16x32_fp8_fp8 v[88:91], a[88:89], a[8:9], v[88:91]// 000000006800: D3F30058 1D621158
	buffer_load_dwordx4 a[84:87], v60, s[84:87], 0 offen offset:1024// 000000006808: E05C1400 8095543C
	v_mfma_f32_16x16x32_fp8_fp8 v[88:91], a[90:91], a[10:11], v[88:91]// 000000006810: D3F30058 1D62155A
	v_mfma_f32_16x16x32_fp8_fp8 v[88:91], a[92:93], a[12:13], v[88:91]// 000000006818: D3F30058 1D62195C
	ds_read_b128 a[48:51], v2 offset:10880                     // 000000006820: DBFE2A80 30000002
	ds_read_b128 a[52:55], v2 offset:10944                     // 000000006828: DBFE2AC0 34000002
	v_mfma_f32_16x16x32_fp8_fp8 v[88:91], a[94:95], a[14:15], v[88:91]// 000000006830: D3F30058 1D621D5E
	v_mfma_f32_16x16x32_fp8_fp8 v[92:95], a[88:89], a[16:17], v[92:95]// 000000006838: D3F3005C 1D722158
	v_mfma_f32_16x16x32_fp8_fp8 v[92:95], a[90:91], a[18:19], v[92:95]// 000000006840: D3F3005C 1D72255A
	v_mfma_f32_16x16x32_fp8_fp8 v[92:95], a[92:93], a[20:21], v[92:95]// 000000006848: D3F3005C 1D72295C
	ds_read_b128 a[56:59], v2 offset:11392                     // 000000006850: DBFE2C80 38000002
	ds_read_b128 a[60:63], v2 offset:11456                     // 000000006858: DBFE2CC0 3C000002
	v_mfma_f32_16x16x32_fp8_fp8 v[92:95], a[94:95], a[22:23], v[92:95]// 000000006860: D3F3005C 1D722D5E
	v_mfma_f32_16x16x32_fp8_fp8 v[96:99], a[88:89], a[24:25], v[96:99]// 000000006868: D3F30060 1D823158
	s_add_u32 s60, 0x180, s80                                  // 000000006870: 803C50FF 00000180
	s_cmp_lt_u32 s60, s81                                      // 000000006878: BF0A513C
	s_cselect_b32 s57, s57, 0                                  // 00000000687C: 85398039
	v_mfma_f32_16x16x32_fp8_fp8 v[96:99], a[90:91], a[26:27], v[96:99]// 000000006880: D3F30060 1D82355A
	s_add_u32 s60, 0x100, s80                                  // 000000006888: 803C50FF 00000100
	s_cmp_lt_u32 s60, s81                                      // 000000006890: BF0A513C
	s_cselect_b32 s58, s58, 0                                  // 000000006894: 853A803A
	v_mfma_f32_16x16x32_fp8_fp8 v[96:99], a[92:93], a[28:29], v[96:99]// 000000006898: D3F30060 1D82395C
	ds_read_b128 a[64:67], v2 offset:11904                     // 0000000068A0: DBFE2E80 40000002
	ds_read_b128 a[68:71], v2 offset:11968                     // 0000000068A8: DBFE2EC0 44000002
	s_add_u32 s60, 0x100, s80                                  // 0000000068B0: 803C50FF 00000100
	s_cmp_lt_u32 s60, s81                                      // 0000000068B8: BF0A513C
	s_cselect_b32 s83, s83, 0                                  // 0000000068BC: 85538053
	v_mfma_f32_16x16x32_fp8_fp8 v[96:99], a[94:95], a[30:31], v[96:99]// 0000000068C0: D3F30060 1D823D5E
	s_add_u32 s24, s58, s24                                    // 0000000068C8: 8018183A
	s_addc_u32 s25, 0, s25                                     // 0000000068CC: 82191980
	v_mfma_f32_16x16x32_fp8_fp8 v[100:103], a[88:89], a[32:33], v[100:103]// 0000000068D0: D3F30064 1D924158
	s_add_u32 s20, s57, s20                                    // 0000000068D8: 80141439
	s_addc_u32 s21, 0, s21                                     // 0000000068DC: 82151580
	v_mfma_f32_16x16x32_fp8_fp8 v[100:103], a[90:91], a[34:35], v[100:103]// 0000000068E0: D3F30064 1D92455A
	s_add_u32 s84, s83, s84                                    // 0000000068E8: 80545453
	s_addc_u32 s85, 0, s85                                     // 0000000068EC: 82555580
	v_mfma_f32_16x16x32_fp8_fp8 v[100:103], a[92:93], a[36:37], v[100:103]// 0000000068F0: D3F30064 1D92495C
	ds_read_b128 a[72:75], v2 offset:12416                     // 0000000068F8: DBFE3080 48000002
	ds_read_b128 a[76:79], v2 offset:12480                     // 000000006900: DBFE30C0 4C000002
	v_mfma_f32_16x16x32_fp8_fp8 v[100:103], a[94:95], a[38:39], v[100:103]// 000000006908: D3F30064 1D924D5E
	s_addk_i32 s80, 0x80                                       // 000000006910: B7500080
	s_cmp_lt_i32 s80, s81                                      // 000000006914: BF045150
	s_cbranch_scc0 label_1322                                  // 000000006918: BF840358
	s_waitcnt vmcnt(12) lgkmcnt(0)                             // 00000000691C: BF8C007C
	v_mfma_f32_16x16x32_fp8_fp8 v[64:67], a[96:97], a[40:41], v[64:67]// 000000006920: D3F30040 1D025160
	buffer_load_dwordx4 a[88:91], v60, s[24:27], 0 offen       // 000000006928: E05C1000 8086583C
	v_mfma_f32_16x16x32_fp8_fp8 v[64:67], a[98:99], a[42:43], v[64:67]// 000000006930: D3F30040 1D025562
	v_mfma_f32_16x16x32_fp8_fp8 v[64:67], a[100:101], a[44:45], v[64:67]// 000000006938: D3F30040 1D025964
	v_mfma_f32_16x16x32_fp8_fp8 v[64:67], a[102:103], a[46:47], v[64:67]// 000000006940: D3F30040 1D025D66
	v_mfma_f32_16x16x32_fp8_fp8 v[68:71], a[96:97], a[48:49], v[68:71]// 000000006948: D3F30044 1D126160
	buffer_load_dwordx4 a[92:95], v60, s[24:27], 0 offen offset:1024// 000000006950: E05C1400 80865C3C
	buffer_load_dword v50, s[20:23], 0 offen lds               // 000000006958: E0511000 80050032
	s_add_u32 m0, 0x100, s48                                   // 000000006960: 807C30FF 00000100
	v_mfma_f32_16x16x32_fp8_fp8 v[68:71], a[98:99], a[50:51], v[68:71]// 000000006968: D3F30044 1D126562
	v_mfma_f32_16x16x32_fp8_fp8 v[68:71], a[100:101], a[52:53], v[68:71]// 000000006970: D3F30044 1D126964
	buffer_load_dword v51, s[20:23], 0 offen lds               // 000000006978: E0511000 80050033
	s_add_u32 m0, 0x200, s48                                   // 000000006980: 807C30FF 00000200
	v_mfma_f32_16x16x32_fp8_fp8 v[68:71], a[102:103], a[54:55], v[68:71]// 000000006988: D3F30044 1D126D66
	v_mfma_f32_16x16x32_fp8_fp8 v[72:75], a[96:97], a[56:57], v[72:75]// 000000006990: D3F30048 1D227160
	buffer_load_dword v52, s[20:23], 0 offen lds               // 000000006998: E0511000 80050034
	s_add_u32 m0, 0x300, s48                                   // 0000000069A0: 807C30FF 00000300
	v_mfma_f32_16x16x32_fp8_fp8 v[72:75], a[98:99], a[58:59], v[72:75]// 0000000069A8: D3F30048 1D227562
	v_mfma_f32_16x16x32_fp8_fp8 v[72:75], a[100:101], a[60:61], v[72:75]// 0000000069B0: D3F30048 1D227964
	buffer_load_dword v53, s[20:23], 0 offen lds               // 0000000069B8: E0511000 80050035
	s_add_u32 m0, 0x400, s48                                   // 0000000069C0: 807C30FF 00000400
	v_mfma_f32_16x16x32_fp8_fp8 v[72:75], a[102:103], a[62:63], v[72:75]// 0000000069C8: D3F30048 1D227D66
	v_mfma_f32_16x16x32_fp8_fp8 v[76:79], a[96:97], a[64:65], v[76:79]// 0000000069D0: D3F3004C 1D328160
	buffer_load_dword v54, s[20:23], 0 offen lds               // 0000000069D8: E0511000 80050036
	s_add_u32 m0, 0x500, s48                                   // 0000000069E0: 807C30FF 00000500
	v_mfma_f32_16x16x32_fp8_fp8 v[76:79], a[98:99], a[66:67], v[76:79]// 0000000069E8: D3F3004C 1D328562
	v_mfma_f32_16x16x32_fp8_fp8 v[76:79], a[100:101], a[68:69], v[76:79]// 0000000069F0: D3F3004C 1D328964
	buffer_load_dword v55, s[20:23], 0 offen lds               // 0000000069F8: E0511000 80050037
	s_add_u32 m0, 0x600, s48                                   // 000000006A00: 807C30FF 00000600
	v_mfma_f32_16x16x32_fp8_fp8 v[76:79], a[102:103], a[70:71], v[76:79]// 000000006A08: D3F3004C 1D328D66
	v_mfma_f32_16x16x32_fp8_fp8 v[80:83], a[96:97], a[72:73], v[80:83]// 000000006A10: D3F30050 1D429160
	buffer_load_dword v56, s[20:23], 0 offen lds               // 000000006A18: E0511000 80050038
	s_add_u32 m0, 0x700, s48                                   // 000000006A20: 807C30FF 00000700
	v_mfma_f32_16x16x32_fp8_fp8 v[80:83], a[98:99], a[74:75], v[80:83]// 000000006A28: D3F30050 1D429562
	v_mfma_f32_16x16x32_fp8_fp8 v[80:83], a[100:101], a[76:77], v[80:83]// 000000006A30: D3F30050 1D429964
	buffer_load_dword v57, s[20:23], 0 offen lds               // 000000006A38: E0511000 80050039
	s_add_u32 m0, 0x800, s48                                   // 000000006A40: 807C30FF 00000800
	v_mfma_f32_16x16x32_fp8_fp8 v[80:83], a[102:103], a[78:79], v[80:83]// 000000006A48: D3F30050 1D429D66
	buffer_load_dword v58, s[20:23], 0 offen lds               // 000000006A50: E0511000 8005003A
	s_add_u32 m0, 0x900, s48                                   // 000000006A58: 807C30FF 00000900
	buffer_load_dword v59, s[20:23], 0 offen lds               // 000000006A60: E0511000 8005003B
	s_add_u32 m0, 0, s49                                       // 000000006A68: 807C3180
	s_waitcnt vmcnt(12)                                        // 000000006A6C: BF8C0F7C
	s_barrier                                                  // 000000006A70: BF8A0000
	v_mfma_f32_16x16x32_fp8_fp8 v[84:87], a[80:81], a[40:41], v[84:87]// 000000006A74: D3F30054 1D525150
	buffer_load_dwordx4 a[96:99], v60, s[84:87], 0 offen       // 000000006A7C: E05C1000 8095603C
	v_mfma_f32_16x16x32_fp8_fp8 v[84:87], a[82:83], a[42:43], v[84:87]// 000000006A84: D3F30054 1D525552
	v_mfma_f32_16x16x32_fp8_fp8 v[84:87], a[84:85], a[44:45], v[84:87]// 000000006A8C: D3F30054 1D525954
	ds_read_b128 a[0:3], v2 offset:20736                       // 000000006A94: DBFE5100 00000002
	ds_read_b128 a[4:7], v2 offset:20800                       // 000000006A9C: DBFE5140 04000002
	v_mfma_f32_16x16x32_fp8_fp8 v[84:87], a[86:87], a[46:47], v[84:87]// 000000006AA4: D3F30054 1D525D56
	v_mfma_f32_16x16x32_fp8_fp8 v[88:91], a[80:81], a[48:49], v[88:91]// 000000006AAC: D3F30058 1D626150
	buffer_load_dwordx4 a[100:103], v60, s[84:87], 0 offen offset:1024// 000000006AB4: E05C1400 8095643C
	v_mfma_f32_16x16x32_fp8_fp8 v[88:91], a[82:83], a[50:51], v[88:91]// 000000006ABC: D3F30058 1D626552
	v_mfma_f32_16x16x32_fp8_fp8 v[88:91], a[84:85], a[52:53], v[88:91]// 000000006AC4: D3F30058 1D626954
	ds_read_b128 a[8:11], v2 offset:21248                      // 000000006ACC: DBFE5300 08000002
	ds_read_b128 a[12:15], v2 offset:21312                     // 000000006AD4: DBFE5340 0C000002
	v_mfma_f32_16x16x32_fp8_fp8 v[88:91], a[86:87], a[54:55], v[88:91]// 000000006ADC: D3F30058 1D626D56
	v_mfma_f32_16x16x32_fp8_fp8 v[92:95], a[80:81], a[56:57], v[92:95]// 000000006AE4: D3F3005C 1D727150
	v_mfma_f32_16x16x32_fp8_fp8 v[92:95], a[82:83], a[58:59], v[92:95]// 000000006AEC: D3F3005C 1D727552
	v_mfma_f32_16x16x32_fp8_fp8 v[92:95], a[84:85], a[60:61], v[92:95]// 000000006AF4: D3F3005C 1D727954
	ds_read_b128 a[16:19], v2 offset:21760                     // 000000006AFC: DBFE5500 10000002
	ds_read_b128 a[20:23], v2 offset:21824                     // 000000006B04: DBFE5540 14000002
	v_mfma_f32_16x16x32_fp8_fp8 v[92:95], a[86:87], a[62:63], v[92:95]// 000000006B0C: D3F3005C 1D727D56
	v_mfma_f32_16x16x32_fp8_fp8 v[96:99], a[80:81], a[64:65], v[96:99]// 000000006B14: D3F30060 1D828150
	s_add_u32 s60, 0x180, s80                                  // 000000006B1C: 803C50FF 00000180
	s_cmp_lt_u32 s60, s81                                      // 000000006B24: BF0A513C
	s_cselect_b32 s57, s57, 0                                  // 000000006B28: 85398039
	v_mfma_f32_16x16x32_fp8_fp8 v[96:99], a[82:83], a[66:67], v[96:99]// 000000006B2C: D3F30060 1D828552
	s_add_u32 s60, 0x100, s80                                  // 000000006B34: 803C50FF 00000100
	s_cmp_lt_u32 s60, s81                                      // 000000006B3C: BF0A513C
	s_cselect_b32 s58, s58, 0                                  // 000000006B40: 853A803A
	v_mfma_f32_16x16x32_fp8_fp8 v[96:99], a[84:85], a[68:69], v[96:99]// 000000006B44: D3F30060 1D828954
	ds_read_b128 a[24:27], v2 offset:22272                     // 000000006B4C: DBFE5700 18000002
	ds_read_b128 a[28:31], v2 offset:22336                     // 000000006B54: DBFE5740 1C000002
	s_add_u32 s60, 0x100, s80                                  // 000000006B5C: 803C50FF 00000100
	s_cmp_lt_u32 s60, s81                                      // 000000006B64: BF0A513C
	s_cselect_b32 s83, s83, 0                                  // 000000006B68: 85538053
	v_mfma_f32_16x16x32_fp8_fp8 v[96:99], a[86:87], a[70:71], v[96:99]// 000000006B6C: D3F30060 1D828D56
	s_add_u32 s24, s58, s24                                    // 000000006B74: 8018183A
	s_addc_u32 s25, 0, s25                                     // 000000006B78: 82191980
	v_mfma_f32_16x16x32_fp8_fp8 v[100:103], a[80:81], a[72:73], v[100:103]// 000000006B7C: D3F30064 1D929150
	s_add_u32 s20, s57, s20                                    // 000000006B84: 80141439
	s_addc_u32 s21, 0, s21                                     // 000000006B88: 82151580
	v_mfma_f32_16x16x32_fp8_fp8 v[100:103], a[82:83], a[74:75], v[100:103]// 000000006B8C: D3F30064 1D929552
	s_add_u32 s84, s83, s84                                    // 000000006B94: 80545453
	s_addc_u32 s85, 0, s85                                     // 000000006B98: 82555580
	v_mfma_f32_16x16x32_fp8_fp8 v[100:103], a[84:85], a[76:77], v[100:103]// 000000006B9C: D3F30064 1D929954
	ds_read_b128 a[32:35], v2 offset:22784                     // 000000006BA4: DBFE5900 20000002
	ds_read_b128 a[36:39], v2 offset:22848                     // 000000006BAC: DBFE5940 24000002
	v_mfma_f32_16x16x32_fp8_fp8 v[100:103], a[86:87], a[78:79], v[100:103]// 000000006BB4: D3F30064 1D929D56
	s_addk_i32 s80, 0x80                                       // 000000006BBC: B7500080
	s_cmp_lt_i32 s80, s81                                      // 000000006BC0: BF045150
	s_cbranch_scc0 label_1322                                  // 000000006BC4: BF8402AD
	s_waitcnt vmcnt(12) lgkmcnt(0)                             // 000000006BC8: BF8C007C
	v_mfma_f32_16x16x32_fp8_fp8 v[64:67], a[88:89], a[0:1], v[64:67]// 000000006BCC: D3F30040 1D020158
	buffer_load_dwordx4 a[80:83], v60, s[24:27], 0 offen       // 000000006BD4: E05C1000 8086503C
	v_mfma_f32_16x16x32_fp8_fp8 v[64:67], a[90:91], a[2:3], v[64:67]// 000000006BDC: D3F30040 1D02055A
	v_mfma_f32_16x16x32_fp8_fp8 v[64:67], a[92:93], a[4:5], v[64:67]// 000000006BE4: D3F30040 1D02095C
	v_mfma_f32_16x16x32_fp8_fp8 v[64:67], a[94:95], a[6:7], v[64:67]// 000000006BEC: D3F30040 1D020D5E
	v_mfma_f32_16x16x32_fp8_fp8 v[68:71], a[88:89], a[8:9], v[68:71]// 000000006BF4: D3F30044 1D121158
	buffer_load_dwordx4 a[84:87], v60, s[24:27], 0 offen offset:1024// 000000006BFC: E05C1400 8086543C
	buffer_load_dword v50, s[20:23], 0 offen lds               // 000000006C04: E0511000 80050032
	s_add_u32 m0, 0x100, s49                                   // 000000006C0C: 807C31FF 00000100
	v_mfma_f32_16x16x32_fp8_fp8 v[68:71], a[90:91], a[10:11], v[68:71]// 000000006C14: D3F30044 1D12155A
	v_mfma_f32_16x16x32_fp8_fp8 v[68:71], a[92:93], a[12:13], v[68:71]// 000000006C1C: D3F30044 1D12195C
	buffer_load_dword v51, s[20:23], 0 offen lds               // 000000006C24: E0511000 80050033
	s_add_u32 m0, 0x200, s49                                   // 000000006C2C: 807C31FF 00000200
	v_mfma_f32_16x16x32_fp8_fp8 v[68:71], a[94:95], a[14:15], v[68:71]// 000000006C34: D3F30044 1D121D5E
	v_mfma_f32_16x16x32_fp8_fp8 v[72:75], a[88:89], a[16:17], v[72:75]// 000000006C3C: D3F30048 1D222158
	buffer_load_dword v52, s[20:23], 0 offen lds               // 000000006C44: E0511000 80050034
	s_add_u32 m0, 0x300, s49                                   // 000000006C4C: 807C31FF 00000300
	v_mfma_f32_16x16x32_fp8_fp8 v[72:75], a[90:91], a[18:19], v[72:75]// 000000006C54: D3F30048 1D22255A
	v_mfma_f32_16x16x32_fp8_fp8 v[72:75], a[92:93], a[20:21], v[72:75]// 000000006C5C: D3F30048 1D22295C
	buffer_load_dword v53, s[20:23], 0 offen lds               // 000000006C64: E0511000 80050035
	s_add_u32 m0, 0x400, s49                                   // 000000006C6C: 807C31FF 00000400
	v_mfma_f32_16x16x32_fp8_fp8 v[72:75], a[94:95], a[22:23], v[72:75]// 000000006C74: D3F30048 1D222D5E
	v_mfma_f32_16x16x32_fp8_fp8 v[76:79], a[88:89], a[24:25], v[76:79]// 000000006C7C: D3F3004C 1D323158
	buffer_load_dword v54, s[20:23], 0 offen lds               // 000000006C84: E0511000 80050036
	s_add_u32 m0, 0x500, s49                                   // 000000006C8C: 807C31FF 00000500
	v_mfma_f32_16x16x32_fp8_fp8 v[76:79], a[90:91], a[26:27], v[76:79]// 000000006C94: D3F3004C 1D32355A
	v_mfma_f32_16x16x32_fp8_fp8 v[76:79], a[92:93], a[28:29], v[76:79]// 000000006C9C: D3F3004C 1D32395C
	buffer_load_dword v55, s[20:23], 0 offen lds               // 000000006CA4: E0511000 80050037
	s_add_u32 m0, 0x600, s49                                   // 000000006CAC: 807C31FF 00000600
	v_mfma_f32_16x16x32_fp8_fp8 v[76:79], a[94:95], a[30:31], v[76:79]// 000000006CB4: D3F3004C 1D323D5E
	v_mfma_f32_16x16x32_fp8_fp8 v[80:83], a[88:89], a[32:33], v[80:83]// 000000006CBC: D3F30050 1D424158
	buffer_load_dword v56, s[20:23], 0 offen lds               // 000000006CC4: E0511000 80050038
	s_add_u32 m0, 0x700, s49                                   // 000000006CCC: 807C31FF 00000700
	v_mfma_f32_16x16x32_fp8_fp8 v[80:83], a[90:91], a[34:35], v[80:83]// 000000006CD4: D3F30050 1D42455A
	v_mfma_f32_16x16x32_fp8_fp8 v[80:83], a[92:93], a[36:37], v[80:83]// 000000006CDC: D3F30050 1D42495C
	buffer_load_dword v57, s[20:23], 0 offen lds               // 000000006CE4: E0511000 80050039
	s_add_u32 m0, 0x800, s49                                   // 000000006CEC: 807C31FF 00000800
	v_mfma_f32_16x16x32_fp8_fp8 v[80:83], a[94:95], a[38:39], v[80:83]// 000000006CF4: D3F30050 1D424D5E
	buffer_load_dword v58, s[20:23], 0 offen lds               // 000000006CFC: E0511000 8005003A
	s_add_u32 m0, 0x900, s49                                   // 000000006D04: 807C31FF 00000900
	buffer_load_dword v59, s[20:23], 0 offen lds               // 000000006D0C: E0511000 8005003B
	s_add_u32 m0, 0, s50                                       // 000000006D14: 807C3280
	s_waitcnt vmcnt(12)                                        // 000000006D18: BF8C0F7C
	s_barrier                                                  // 000000006D1C: BF8A0000
	v_mfma_f32_16x16x32_fp8_fp8 v[84:87], a[96:97], a[0:1], v[84:87]// 000000006D20: D3F30054 1D520160
	buffer_load_dwordx4 a[88:91], v60, s[84:87], 0 offen       // 000000006D28: E05C1000 8095583C
	v_mfma_f32_16x16x32_fp8_fp8 v[84:87], a[98:99], a[2:3], v[84:87]// 000000006D30: D3F30054 1D520562
	v_mfma_f32_16x16x32_fp8_fp8 v[84:87], a[100:101], a[4:5], v[84:87]// 000000006D38: D3F30054 1D520964
	ds_read_b128 a[40:43], v2                                  // 000000006D40: DBFE0000 28000002
	ds_read_b128 a[44:47], v2 offset:64                        // 000000006D48: DBFE0040 2C000002
	v_mfma_f32_16x16x32_fp8_fp8 v[84:87], a[102:103], a[6:7], v[84:87]// 000000006D50: D3F30054 1D520D66
	v_mfma_f32_16x16x32_fp8_fp8 v[88:91], a[96:97], a[8:9], v[88:91]// 000000006D58: D3F30058 1D621160
	buffer_load_dwordx4 a[92:95], v60, s[84:87], 0 offen offset:1024// 000000006D60: E05C1400 80955C3C
	v_mfma_f32_16x16x32_fp8_fp8 v[88:91], a[98:99], a[10:11], v[88:91]// 000000006D68: D3F30058 1D621562
	v_mfma_f32_16x16x32_fp8_fp8 v[88:91], a[100:101], a[12:13], v[88:91]// 000000006D70: D3F30058 1D621964
	ds_read_b128 a[48:51], v2 offset:512                       // 000000006D78: DBFE0200 30000002
	ds_read_b128 a[52:55], v2 offset:576                       // 000000006D80: DBFE0240 34000002
	v_mfma_f32_16x16x32_fp8_fp8 v[88:91], a[102:103], a[14:15], v[88:91]// 000000006D88: D3F30058 1D621D66
	v_mfma_f32_16x16x32_fp8_fp8 v[92:95], a[96:97], a[16:17], v[92:95]// 000000006D90: D3F3005C 1D722160
	v_mfma_f32_16x16x32_fp8_fp8 v[92:95], a[98:99], a[18:19], v[92:95]// 000000006D98: D3F3005C 1D722562
	v_mfma_f32_16x16x32_fp8_fp8 v[92:95], a[100:101], a[20:21], v[92:95]// 000000006DA0: D3F3005C 1D722964
	ds_read_b128 a[56:59], v2 offset:1024                      // 000000006DA8: DBFE0400 38000002
	ds_read_b128 a[60:63], v2 offset:1088                      // 000000006DB0: DBFE0440 3C000002
	v_mfma_f32_16x16x32_fp8_fp8 v[92:95], a[102:103], a[22:23], v[92:95]// 000000006DB8: D3F3005C 1D722D66
	v_mfma_f32_16x16x32_fp8_fp8 v[96:99], a[96:97], a[24:25], v[96:99]// 000000006DC0: D3F30060 1D823160
	s_add_u32 s60, 0x180, s80                                  // 000000006DC8: 803C50FF 00000180
	s_cmp_lt_u32 s60, s81                                      // 000000006DD0: BF0A513C
	s_cselect_b32 s57, s57, 0                                  // 000000006DD4: 85398039
	v_mfma_f32_16x16x32_fp8_fp8 v[96:99], a[98:99], a[26:27], v[96:99]// 000000006DD8: D3F30060 1D823562
	s_add_u32 s60, 0x100, s80                                  // 000000006DE0: 803C50FF 00000100
	s_cmp_lt_u32 s60, s81                                      // 000000006DE8: BF0A513C
	s_cselect_b32 s58, s58, 0                                  // 000000006DEC: 853A803A
	v_mfma_f32_16x16x32_fp8_fp8 v[96:99], a[100:101], a[28:29], v[96:99]// 000000006DF0: D3F30060 1D823964
	ds_read_b128 a[64:67], v2 offset:1536                      // 000000006DF8: DBFE0600 40000002
	ds_read_b128 a[68:71], v2 offset:1600                      // 000000006E00: DBFE0640 44000002
	s_add_u32 s60, 0x100, s80                                  // 000000006E08: 803C50FF 00000100
	s_cmp_lt_u32 s60, s81                                      // 000000006E10: BF0A513C
	s_cselect_b32 s83, s83, 0                                  // 000000006E14: 85538053
	v_mfma_f32_16x16x32_fp8_fp8 v[96:99], a[102:103], a[30:31], v[96:99]// 000000006E18: D3F30060 1D823D66
	s_add_u32 s24, s58, s24                                    // 000000006E20: 8018183A
	s_addc_u32 s25, 0, s25                                     // 000000006E24: 82191980
	v_mfma_f32_16x16x32_fp8_fp8 v[100:103], a[96:97], a[32:33], v[100:103]// 000000006E28: D3F30064 1D924160
	s_add_u32 s20, s57, s20                                    // 000000006E30: 80141439
	s_addc_u32 s21, 0, s21                                     // 000000006E34: 82151580
	v_mfma_f32_16x16x32_fp8_fp8 v[100:103], a[98:99], a[34:35], v[100:103]// 000000006E38: D3F30064 1D924562
	s_add_u32 s84, s83, s84                                    // 000000006E40: 80545453
	s_addc_u32 s85, 0, s85                                     // 000000006E44: 82555580
	v_mfma_f32_16x16x32_fp8_fp8 v[100:103], a[100:101], a[36:37], v[100:103]// 000000006E48: D3F30064 1D924964
	ds_read_b128 a[72:75], v2 offset:2048                      // 000000006E50: DBFE0800 48000002
	ds_read_b128 a[76:79], v2 offset:2112                      // 000000006E58: DBFE0840 4C000002
	v_mfma_f32_16x16x32_fp8_fp8 v[100:103], a[102:103], a[38:39], v[100:103]// 000000006E60: D3F30064 1D924D66
	s_addk_i32 s80, 0x80                                       // 000000006E68: B7500080
	s_cmp_lt_i32 s80, s81                                      // 000000006E6C: BF045150
	s_cbranch_scc0 label_1322                                  // 000000006E70: BF840202
	s_waitcnt vmcnt(12) lgkmcnt(0)                             // 000000006E74: BF8C007C
	v_mfma_f32_16x16x32_fp8_fp8 v[64:67], a[80:81], a[40:41], v[64:67]// 000000006E78: D3F30040 1D025150
	buffer_load_dwordx4 a[96:99], v60, s[24:27], 0 offen       // 000000006E80: E05C1000 8086603C
	v_mfma_f32_16x16x32_fp8_fp8 v[64:67], a[82:83], a[42:43], v[64:67]// 000000006E88: D3F30040 1D025552
	v_mfma_f32_16x16x32_fp8_fp8 v[64:67], a[84:85], a[44:45], v[64:67]// 000000006E90: D3F30040 1D025954
	v_mfma_f32_16x16x32_fp8_fp8 v[64:67], a[86:87], a[46:47], v[64:67]// 000000006E98: D3F30040 1D025D56
	v_mfma_f32_16x16x32_fp8_fp8 v[68:71], a[80:81], a[48:49], v[68:71]// 000000006EA0: D3F30044 1D126150
	buffer_load_dwordx4 a[100:103], v60, s[24:27], 0 offen offset:1024// 000000006EA8: E05C1400 8086643C
	buffer_load_dword v50, s[20:23], 0 offen lds               // 000000006EB0: E0511000 80050032
	s_add_u32 m0, 0x100, s50                                   // 000000006EB8: 807C32FF 00000100
	v_mfma_f32_16x16x32_fp8_fp8 v[68:71], a[82:83], a[50:51], v[68:71]// 000000006EC0: D3F30044 1D126552
	v_mfma_f32_16x16x32_fp8_fp8 v[68:71], a[84:85], a[52:53], v[68:71]// 000000006EC8: D3F30044 1D126954
	buffer_load_dword v51, s[20:23], 0 offen lds               // 000000006ED0: E0511000 80050033
	s_add_u32 m0, 0x200, s50                                   // 000000006ED8: 807C32FF 00000200
	v_mfma_f32_16x16x32_fp8_fp8 v[68:71], a[86:87], a[54:55], v[68:71]// 000000006EE0: D3F30044 1D126D56
	v_mfma_f32_16x16x32_fp8_fp8 v[72:75], a[80:81], a[56:57], v[72:75]// 000000006EE8: D3F30048 1D227150
	buffer_load_dword v52, s[20:23], 0 offen lds               // 000000006EF0: E0511000 80050034
	s_add_u32 m0, 0x300, s50                                   // 000000006EF8: 807C32FF 00000300
	v_mfma_f32_16x16x32_fp8_fp8 v[72:75], a[82:83], a[58:59], v[72:75]// 000000006F00: D3F30048 1D227552
	v_mfma_f32_16x16x32_fp8_fp8 v[72:75], a[84:85], a[60:61], v[72:75]// 000000006F08: D3F30048 1D227954
	buffer_load_dword v53, s[20:23], 0 offen lds               // 000000006F10: E0511000 80050035
	s_add_u32 m0, 0x400, s50                                   // 000000006F18: 807C32FF 00000400
	v_mfma_f32_16x16x32_fp8_fp8 v[72:75], a[86:87], a[62:63], v[72:75]// 000000006F20: D3F30048 1D227D56
	v_mfma_f32_16x16x32_fp8_fp8 v[76:79], a[80:81], a[64:65], v[76:79]// 000000006F28: D3F3004C 1D328150
	buffer_load_dword v54, s[20:23], 0 offen lds               // 000000006F30: E0511000 80050036
	s_add_u32 m0, 0x500, s50                                   // 000000006F38: 807C32FF 00000500
	v_mfma_f32_16x16x32_fp8_fp8 v[76:79], a[82:83], a[66:67], v[76:79]// 000000006F40: D3F3004C 1D328552
	v_mfma_f32_16x16x32_fp8_fp8 v[76:79], a[84:85], a[68:69], v[76:79]// 000000006F48: D3F3004C 1D328954
	buffer_load_dword v55, s[20:23], 0 offen lds               // 000000006F50: E0511000 80050037
	s_add_u32 m0, 0x600, s50                                   // 000000006F58: 807C32FF 00000600
	v_mfma_f32_16x16x32_fp8_fp8 v[76:79], a[86:87], a[70:71], v[76:79]// 000000006F60: D3F3004C 1D328D56
	v_mfma_f32_16x16x32_fp8_fp8 v[80:83], a[80:81], a[72:73], v[80:83]// 000000006F68: D3F30050 1D429150
	buffer_load_dword v56, s[20:23], 0 offen lds               // 000000006F70: E0511000 80050038
	s_add_u32 m0, 0x700, s50                                   // 000000006F78: 807C32FF 00000700
	v_mfma_f32_16x16x32_fp8_fp8 v[80:83], a[82:83], a[74:75], v[80:83]// 000000006F80: D3F30050 1D429552
	v_mfma_f32_16x16x32_fp8_fp8 v[80:83], a[84:85], a[76:77], v[80:83]// 000000006F88: D3F30050 1D429954
	buffer_load_dword v57, s[20:23], 0 offen lds               // 000000006F90: E0511000 80050039
	s_add_u32 m0, 0x800, s50                                   // 000000006F98: 807C32FF 00000800
	v_mfma_f32_16x16x32_fp8_fp8 v[80:83], a[86:87], a[78:79], v[80:83]// 000000006FA0: D3F30050 1D429D56
	buffer_load_dword v58, s[20:23], 0 offen lds               // 000000006FA8: E0511000 8005003A
	s_add_u32 m0, 0x900, s50                                   // 000000006FB0: 807C32FF 00000900
	buffer_load_dword v59, s[20:23], 0 offen lds               // 000000006FB8: E0511000 8005003B
	s_add_u32 m0, 0, s48                                       // 000000006FC0: 807C3080
	s_waitcnt vmcnt(12)                                        // 000000006FC4: BF8C0F7C
	s_barrier                                                  // 000000006FC8: BF8A0000
	v_mfma_f32_16x16x32_fp8_fp8 v[84:87], a[88:89], a[40:41], v[84:87]// 000000006FCC: D3F30054 1D525158
	buffer_load_dwordx4 a[80:83], v60, s[84:87], 0 offen       // 000000006FD4: E05C1000 8095503C
	v_mfma_f32_16x16x32_fp8_fp8 v[84:87], a[90:91], a[42:43], v[84:87]// 000000006FDC: D3F30054 1D52555A
	v_mfma_f32_16x16x32_fp8_fp8 v[84:87], a[92:93], a[44:45], v[84:87]// 000000006FE4: D3F30054 1D52595C
	ds_read_b128 a[0:3], v2 offset:10368                       // 000000006FEC: DBFE2880 00000002
	ds_read_b128 a[4:7], v2 offset:10432                       // 000000006FF4: DBFE28C0 04000002
	v_mfma_f32_16x16x32_fp8_fp8 v[84:87], a[94:95], a[46:47], v[84:87]// 000000006FFC: D3F30054 1D525D5E
	v_mfma_f32_16x16x32_fp8_fp8 v[88:91], a[88:89], a[48:49], v[88:91]// 000000007004: D3F30058 1D626158
	buffer_load_dwordx4 a[84:87], v60, s[84:87], 0 offen offset:1024// 00000000700C: E05C1400 8095543C
	v_mfma_f32_16x16x32_fp8_fp8 v[88:91], a[90:91], a[50:51], v[88:91]// 000000007014: D3F30058 1D62655A
	v_mfma_f32_16x16x32_fp8_fp8 v[88:91], a[92:93], a[52:53], v[88:91]// 00000000701C: D3F30058 1D62695C
	ds_read_b128 a[8:11], v2 offset:10880                      // 000000007024: DBFE2A80 08000002
	ds_read_b128 a[12:15], v2 offset:10944                     // 00000000702C: DBFE2AC0 0C000002
	v_mfma_f32_16x16x32_fp8_fp8 v[88:91], a[94:95], a[54:55], v[88:91]// 000000007034: D3F30058 1D626D5E
	v_mfma_f32_16x16x32_fp8_fp8 v[92:95], a[88:89], a[56:57], v[92:95]// 00000000703C: D3F3005C 1D727158
	v_mfma_f32_16x16x32_fp8_fp8 v[92:95], a[90:91], a[58:59], v[92:95]// 000000007044: D3F3005C 1D72755A
	v_mfma_f32_16x16x32_fp8_fp8 v[92:95], a[92:93], a[60:61], v[92:95]// 00000000704C: D3F3005C 1D72795C
	ds_read_b128 a[16:19], v2 offset:11392                     // 000000007054: DBFE2C80 10000002
	ds_read_b128 a[20:23], v2 offset:11456                     // 00000000705C: DBFE2CC0 14000002
	v_mfma_f32_16x16x32_fp8_fp8 v[92:95], a[94:95], a[62:63], v[92:95]// 000000007064: D3F3005C 1D727D5E
	v_mfma_f32_16x16x32_fp8_fp8 v[96:99], a[88:89], a[64:65], v[96:99]// 00000000706C: D3F30060 1D828158
	s_add_u32 s60, 0x180, s80                                  // 000000007074: 803C50FF 00000180
	s_cmp_lt_u32 s60, s81                                      // 00000000707C: BF0A513C
	s_cselect_b32 s57, s57, 0                                  // 000000007080: 85398039
	v_mfma_f32_16x16x32_fp8_fp8 v[96:99], a[90:91], a[66:67], v[96:99]// 000000007084: D3F30060 1D82855A
	s_add_u32 s60, 0x100, s80                                  // 00000000708C: 803C50FF 00000100
	s_cmp_lt_u32 s60, s81                                      // 000000007094: BF0A513C
	s_cselect_b32 s58, s58, 0                                  // 000000007098: 853A803A
	v_mfma_f32_16x16x32_fp8_fp8 v[96:99], a[92:93], a[68:69], v[96:99]// 00000000709C: D3F30060 1D82895C
	ds_read_b128 a[24:27], v2 offset:11904                     // 0000000070A4: DBFE2E80 18000002
	ds_read_b128 a[28:31], v2 offset:11968                     // 0000000070AC: DBFE2EC0 1C000002
	s_add_u32 s60, 0x100, s80                                  // 0000000070B4: 803C50FF 00000100
	s_cmp_lt_u32 s60, s81                                      // 0000000070BC: BF0A513C
	s_cselect_b32 s83, s83, 0                                  // 0000000070C0: 85538053
	v_mfma_f32_16x16x32_fp8_fp8 v[96:99], a[94:95], a[70:71], v[96:99]// 0000000070C4: D3F30060 1D828D5E
	s_add_u32 s24, s58, s24                                    // 0000000070CC: 8018183A
	s_addc_u32 s25, 0, s25                                     // 0000000070D0: 82191980
	v_mfma_f32_16x16x32_fp8_fp8 v[100:103], a[88:89], a[72:73], v[100:103]// 0000000070D4: D3F30064 1D929158
	s_add_u32 s20, s57, s20                                    // 0000000070DC: 80141439
	s_addc_u32 s21, 0, s21                                     // 0000000070E0: 82151580
	v_mfma_f32_16x16x32_fp8_fp8 v[100:103], a[90:91], a[74:75], v[100:103]// 0000000070E4: D3F30064 1D92955A
	s_add_u32 s84, s83, s84                                    // 0000000070EC: 80545453
	s_addc_u32 s85, 0, s85                                     // 0000000070F0: 82555580
	v_mfma_f32_16x16x32_fp8_fp8 v[100:103], a[92:93], a[76:77], v[100:103]// 0000000070F4: D3F30064 1D92995C
	ds_read_b128 a[32:35], v2 offset:12416                     // 0000000070FC: DBFE3080 20000002
	ds_read_b128 a[36:39], v2 offset:12480                     // 000000007104: DBFE30C0 24000002
	v_mfma_f32_16x16x32_fp8_fp8 v[100:103], a[94:95], a[78:79], v[100:103]// 00000000710C: D3F30064 1D929D5E
	s_addk_i32 s80, 0x80                                       // 000000007114: B7500080
	s_cmp_lt_i32 s80, s81                                      // 000000007118: BF045150
	s_cbranch_scc0 label_1322                                  // 00000000711C: BF840157
	s_waitcnt vmcnt(12) lgkmcnt(0)                             // 000000007120: BF8C007C
	v_mfma_f32_16x16x32_fp8_fp8 v[64:67], a[96:97], a[0:1], v[64:67]// 000000007124: D3F30040 1D020160
	buffer_load_dwordx4 a[88:91], v60, s[24:27], 0 offen       // 00000000712C: E05C1000 8086583C
	v_mfma_f32_16x16x32_fp8_fp8 v[64:67], a[98:99], a[2:3], v[64:67]// 000000007134: D3F30040 1D020562
	v_mfma_f32_16x16x32_fp8_fp8 v[64:67], a[100:101], a[4:5], v[64:67]// 00000000713C: D3F30040 1D020964
	v_mfma_f32_16x16x32_fp8_fp8 v[64:67], a[102:103], a[6:7], v[64:67]// 000000007144: D3F30040 1D020D66
	v_mfma_f32_16x16x32_fp8_fp8 v[68:71], a[96:97], a[8:9], v[68:71]// 00000000714C: D3F30044 1D121160
	buffer_load_dwordx4 a[92:95], v60, s[24:27], 0 offen offset:1024// 000000007154: E05C1400 80865C3C
	buffer_load_dword v50, s[20:23], 0 offen lds               // 00000000715C: E0511000 80050032
	s_add_u32 m0, 0x100, s48                                   // 000000007164: 807C30FF 00000100
	v_mfma_f32_16x16x32_fp8_fp8 v[68:71], a[98:99], a[10:11], v[68:71]// 00000000716C: D3F30044 1D121562
	v_mfma_f32_16x16x32_fp8_fp8 v[68:71], a[100:101], a[12:13], v[68:71]// 000000007174: D3F30044 1D121964
	buffer_load_dword v51, s[20:23], 0 offen lds               // 00000000717C: E0511000 80050033
	s_add_u32 m0, 0x200, s48                                   // 000000007184: 807C30FF 00000200
	v_mfma_f32_16x16x32_fp8_fp8 v[68:71], a[102:103], a[14:15], v[68:71]// 00000000718C: D3F30044 1D121D66
	v_mfma_f32_16x16x32_fp8_fp8 v[72:75], a[96:97], a[16:17], v[72:75]// 000000007194: D3F30048 1D222160
	buffer_load_dword v52, s[20:23], 0 offen lds               // 00000000719C: E0511000 80050034
	s_add_u32 m0, 0x300, s48                                   // 0000000071A4: 807C30FF 00000300
	v_mfma_f32_16x16x32_fp8_fp8 v[72:75], a[98:99], a[18:19], v[72:75]// 0000000071AC: D3F30048 1D222562
	v_mfma_f32_16x16x32_fp8_fp8 v[72:75], a[100:101], a[20:21], v[72:75]// 0000000071B4: D3F30048 1D222964
	buffer_load_dword v53, s[20:23], 0 offen lds               // 0000000071BC: E0511000 80050035
	s_add_u32 m0, 0x400, s48                                   // 0000000071C4: 807C30FF 00000400
	v_mfma_f32_16x16x32_fp8_fp8 v[72:75], a[102:103], a[22:23], v[72:75]// 0000000071CC: D3F30048 1D222D66
	v_mfma_f32_16x16x32_fp8_fp8 v[76:79], a[96:97], a[24:25], v[76:79]// 0000000071D4: D3F3004C 1D323160
	buffer_load_dword v54, s[20:23], 0 offen lds               // 0000000071DC: E0511000 80050036
	s_add_u32 m0, 0x500, s48                                   // 0000000071E4: 807C30FF 00000500
	v_mfma_f32_16x16x32_fp8_fp8 v[76:79], a[98:99], a[26:27], v[76:79]// 0000000071EC: D3F3004C 1D323562
	v_mfma_f32_16x16x32_fp8_fp8 v[76:79], a[100:101], a[28:29], v[76:79]// 0000000071F4: D3F3004C 1D323964
	buffer_load_dword v55, s[20:23], 0 offen lds               // 0000000071FC: E0511000 80050037
	s_add_u32 m0, 0x600, s48                                   // 000000007204: 807C30FF 00000600
	v_mfma_f32_16x16x32_fp8_fp8 v[76:79], a[102:103], a[30:31], v[76:79]// 00000000720C: D3F3004C 1D323D66
	v_mfma_f32_16x16x32_fp8_fp8 v[80:83], a[96:97], a[32:33], v[80:83]// 000000007214: D3F30050 1D424160
	buffer_load_dword v56, s[20:23], 0 offen lds               // 00000000721C: E0511000 80050038
	s_add_u32 m0, 0x700, s48                                   // 000000007224: 807C30FF 00000700
	v_mfma_f32_16x16x32_fp8_fp8 v[80:83], a[98:99], a[34:35], v[80:83]// 00000000722C: D3F30050 1D424562
	v_mfma_f32_16x16x32_fp8_fp8 v[80:83], a[100:101], a[36:37], v[80:83]// 000000007234: D3F30050 1D424964
	buffer_load_dword v57, s[20:23], 0 offen lds               // 00000000723C: E0511000 80050039
	s_add_u32 m0, 0x800, s48                                   // 000000007244: 807C30FF 00000800
	v_mfma_f32_16x16x32_fp8_fp8 v[80:83], a[102:103], a[38:39], v[80:83]// 00000000724C: D3F30050 1D424D66
	buffer_load_dword v58, s[20:23], 0 offen lds               // 000000007254: E0511000 8005003A
	s_add_u32 m0, 0x900, s48                                   // 00000000725C: 807C30FF 00000900
	buffer_load_dword v59, s[20:23], 0 offen lds               // 000000007264: E0511000 8005003B
	s_add_u32 m0, 0, s49                                       // 00000000726C: 807C3180
	s_waitcnt vmcnt(12)                                        // 000000007270: BF8C0F7C
	s_barrier                                                  // 000000007274: BF8A0000
	v_mfma_f32_16x16x32_fp8_fp8 v[84:87], a[80:81], a[0:1], v[84:87]// 000000007278: D3F30054 1D520150
	buffer_load_dwordx4 a[96:99], v60, s[84:87], 0 offen       // 000000007280: E05C1000 8095603C
	v_mfma_f32_16x16x32_fp8_fp8 v[84:87], a[82:83], a[2:3], v[84:87]// 000000007288: D3F30054 1D520552
	v_mfma_f32_16x16x32_fp8_fp8 v[84:87], a[84:85], a[4:5], v[84:87]// 000000007290: D3F30054 1D520954
	ds_read_b128 a[40:43], v2 offset:20736                     // 000000007298: DBFE5100 28000002
	ds_read_b128 a[44:47], v2 offset:20800                     // 0000000072A0: DBFE5140 2C000002
	v_mfma_f32_16x16x32_fp8_fp8 v[84:87], a[86:87], a[6:7], v[84:87]// 0000000072A8: D3F30054 1D520D56
	v_mfma_f32_16x16x32_fp8_fp8 v[88:91], a[80:81], a[8:9], v[88:91]// 0000000072B0: D3F30058 1D621150
	buffer_load_dwordx4 a[100:103], v60, s[84:87], 0 offen offset:1024// 0000000072B8: E05C1400 8095643C
	v_mfma_f32_16x16x32_fp8_fp8 v[88:91], a[82:83], a[10:11], v[88:91]// 0000000072C0: D3F30058 1D621552
	v_mfma_f32_16x16x32_fp8_fp8 v[88:91], a[84:85], a[12:13], v[88:91]// 0000000072C8: D3F30058 1D621954
	ds_read_b128 a[48:51], v2 offset:21248                     // 0000000072D0: DBFE5300 30000002
	ds_read_b128 a[52:55], v2 offset:21312                     // 0000000072D8: DBFE5340 34000002
	v_mfma_f32_16x16x32_fp8_fp8 v[88:91], a[86:87], a[14:15], v[88:91]// 0000000072E0: D3F30058 1D621D56
	v_mfma_f32_16x16x32_fp8_fp8 v[92:95], a[80:81], a[16:17], v[92:95]// 0000000072E8: D3F3005C 1D722150
	v_mfma_f32_16x16x32_fp8_fp8 v[92:95], a[82:83], a[18:19], v[92:95]// 0000000072F0: D3F3005C 1D722552
	v_mfma_f32_16x16x32_fp8_fp8 v[92:95], a[84:85], a[20:21], v[92:95]// 0000000072F8: D3F3005C 1D722954
	ds_read_b128 a[56:59], v2 offset:21760                     // 000000007300: DBFE5500 38000002
	ds_read_b128 a[60:63], v2 offset:21824                     // 000000007308: DBFE5540 3C000002
	v_mfma_f32_16x16x32_fp8_fp8 v[92:95], a[86:87], a[22:23], v[92:95]// 000000007310: D3F3005C 1D722D56
	v_mfma_f32_16x16x32_fp8_fp8 v[96:99], a[80:81], a[24:25], v[96:99]// 000000007318: D3F30060 1D823150
	s_add_u32 s60, 0x180, s80                                  // 000000007320: 803C50FF 00000180
	s_cmp_lt_u32 s60, s81                                      // 000000007328: BF0A513C
	s_cselect_b32 s57, s57, 0                                  // 00000000732C: 85398039
	v_mfma_f32_16x16x32_fp8_fp8 v[96:99], a[82:83], a[26:27], v[96:99]// 000000007330: D3F30060 1D823552
	s_add_u32 s60, 0x100, s80                                  // 000000007338: 803C50FF 00000100
	s_cmp_lt_u32 s60, s81                                      // 000000007340: BF0A513C
	s_cselect_b32 s58, s58, 0                                  // 000000007344: 853A803A
	v_mfma_f32_16x16x32_fp8_fp8 v[96:99], a[84:85], a[28:29], v[96:99]// 000000007348: D3F30060 1D823954
	ds_read_b128 a[64:67], v2 offset:22272                     // 000000007350: DBFE5700 40000002
	ds_read_b128 a[68:71], v2 offset:22336                     // 000000007358: DBFE5740 44000002
	s_add_u32 s60, 0x100, s80                                  // 000000007360: 803C50FF 00000100
	s_cmp_lt_u32 s60, s81                                      // 000000007368: BF0A513C
	s_cselect_b32 s83, s83, 0                                  // 00000000736C: 85538053
	v_mfma_f32_16x16x32_fp8_fp8 v[96:99], a[86:87], a[30:31], v[96:99]// 000000007370: D3F30060 1D823D56
	s_add_u32 s24, s58, s24                                    // 000000007378: 8018183A
	s_addc_u32 s25, 0, s25                                     // 00000000737C: 82191980
	v_mfma_f32_16x16x32_fp8_fp8 v[100:103], a[80:81], a[32:33], v[100:103]// 000000007380: D3F30064 1D924150
	s_add_u32 s20, s57, s20                                    // 000000007388: 80141439
	s_addc_u32 s21, 0, s21                                     // 00000000738C: 82151580
	v_mfma_f32_16x16x32_fp8_fp8 v[100:103], a[82:83], a[34:35], v[100:103]// 000000007390: D3F30064 1D924552
	s_add_u32 s84, s83, s84                                    // 000000007398: 80545453
	s_addc_u32 s85, 0, s85                                     // 00000000739C: 82555580
	v_mfma_f32_16x16x32_fp8_fp8 v[100:103], a[84:85], a[36:37], v[100:103]// 0000000073A0: D3F30064 1D924954
	ds_read_b128 a[72:75], v2 offset:22784                     // 0000000073A8: DBFE5900 48000002
	ds_read_b128 a[76:79], v2 offset:22848                     // 0000000073B0: DBFE5940 4C000002
	v_mfma_f32_16x16x32_fp8_fp8 v[100:103], a[86:87], a[38:39], v[100:103]// 0000000073B8: D3F30064 1D924D56
	s_addk_i32 s80, 0x80                                       // 0000000073C0: B7500080
	s_cmp_lt_i32 s80, s81                                      // 0000000073C4: BF045150
	s_cbranch_scc0 label_1322                                  // 0000000073C8: BF8400AC
	s_waitcnt vmcnt(12) lgkmcnt(0)                             // 0000000073CC: BF8C007C
	v_mfma_f32_16x16x32_fp8_fp8 v[64:67], a[88:89], a[40:41], v[64:67]// 0000000073D0: D3F30040 1D025158
	buffer_load_dwordx4 a[80:83], v60, s[24:27], 0 offen       // 0000000073D8: E05C1000 8086503C
	v_mfma_f32_16x16x32_fp8_fp8 v[64:67], a[90:91], a[42:43], v[64:67]// 0000000073E0: D3F30040 1D02555A
	v_mfma_f32_16x16x32_fp8_fp8 v[64:67], a[92:93], a[44:45], v[64:67]// 0000000073E8: D3F30040 1D02595C
	v_mfma_f32_16x16x32_fp8_fp8 v[64:67], a[94:95], a[46:47], v[64:67]// 0000000073F0: D3F30040 1D025D5E
	v_mfma_f32_16x16x32_fp8_fp8 v[68:71], a[88:89], a[48:49], v[68:71]// 0000000073F8: D3F30044 1D126158
	buffer_load_dwordx4 a[84:87], v60, s[24:27], 0 offen offset:1024// 000000007400: E05C1400 8086543C
	buffer_load_dword v50, s[20:23], 0 offen lds               // 000000007408: E0511000 80050032
	s_add_u32 m0, 0x100, s49                                   // 000000007410: 807C31FF 00000100
	v_mfma_f32_16x16x32_fp8_fp8 v[68:71], a[90:91], a[50:51], v[68:71]// 000000007418: D3F30044 1D12655A
	v_mfma_f32_16x16x32_fp8_fp8 v[68:71], a[92:93], a[52:53], v[68:71]// 000000007420: D3F30044 1D12695C
	buffer_load_dword v51, s[20:23], 0 offen lds               // 000000007428: E0511000 80050033
	s_add_u32 m0, 0x200, s49                                   // 000000007430: 807C31FF 00000200
	v_mfma_f32_16x16x32_fp8_fp8 v[68:71], a[94:95], a[54:55], v[68:71]// 000000007438: D3F30044 1D126D5E
	v_mfma_f32_16x16x32_fp8_fp8 v[72:75], a[88:89], a[56:57], v[72:75]// 000000007440: D3F30048 1D227158
	buffer_load_dword v52, s[20:23], 0 offen lds               // 000000007448: E0511000 80050034
	s_add_u32 m0, 0x300, s49                                   // 000000007450: 807C31FF 00000300
	v_mfma_f32_16x16x32_fp8_fp8 v[72:75], a[90:91], a[58:59], v[72:75]// 000000007458: D3F30048 1D22755A
	v_mfma_f32_16x16x32_fp8_fp8 v[72:75], a[92:93], a[60:61], v[72:75]// 000000007460: D3F30048 1D22795C
	buffer_load_dword v53, s[20:23], 0 offen lds               // 000000007468: E0511000 80050035
	s_add_u32 m0, 0x400, s49                                   // 000000007470: 807C31FF 00000400
	v_mfma_f32_16x16x32_fp8_fp8 v[72:75], a[94:95], a[62:63], v[72:75]// 000000007478: D3F30048 1D227D5E
	v_mfma_f32_16x16x32_fp8_fp8 v[76:79], a[88:89], a[64:65], v[76:79]// 000000007480: D3F3004C 1D328158
	buffer_load_dword v54, s[20:23], 0 offen lds               // 000000007488: E0511000 80050036
	s_add_u32 m0, 0x500, s49                                   // 000000007490: 807C31FF 00000500
	v_mfma_f32_16x16x32_fp8_fp8 v[76:79], a[90:91], a[66:67], v[76:79]// 000000007498: D3F3004C 1D32855A
	v_mfma_f32_16x16x32_fp8_fp8 v[76:79], a[92:93], a[68:69], v[76:79]// 0000000074A0: D3F3004C 1D32895C
	buffer_load_dword v55, s[20:23], 0 offen lds               // 0000000074A8: E0511000 80050037
	s_add_u32 m0, 0x600, s49                                   // 0000000074B0: 807C31FF 00000600
	v_mfma_f32_16x16x32_fp8_fp8 v[76:79], a[94:95], a[70:71], v[76:79]// 0000000074B8: D3F3004C 1D328D5E
	v_mfma_f32_16x16x32_fp8_fp8 v[80:83], a[88:89], a[72:73], v[80:83]// 0000000074C0: D3F30050 1D429158
	buffer_load_dword v56, s[20:23], 0 offen lds               // 0000000074C8: E0511000 80050038
	s_add_u32 m0, 0x700, s49                                   // 0000000074D0: 807C31FF 00000700
	v_mfma_f32_16x16x32_fp8_fp8 v[80:83], a[90:91], a[74:75], v[80:83]// 0000000074D8: D3F30050 1D42955A
	v_mfma_f32_16x16x32_fp8_fp8 v[80:83], a[92:93], a[76:77], v[80:83]// 0000000074E0: D3F30050 1D42995C
	buffer_load_dword v57, s[20:23], 0 offen lds               // 0000000074E8: E0511000 80050039
	s_add_u32 m0, 0x800, s49                                   // 0000000074F0: 807C31FF 00000800
	v_mfma_f32_16x16x32_fp8_fp8 v[80:83], a[94:95], a[78:79], v[80:83]// 0000000074F8: D3F30050 1D429D5E
	buffer_load_dword v58, s[20:23], 0 offen lds               // 000000007500: E0511000 8005003A
	s_add_u32 m0, 0x900, s49                                   // 000000007508: 807C31FF 00000900
	buffer_load_dword v59, s[20:23], 0 offen lds               // 000000007510: E0511000 8005003B
	s_add_u32 m0, 0, s50                                       // 000000007518: 807C3280
	s_waitcnt vmcnt(12)                                        // 00000000751C: BF8C0F7C
	s_barrier                                                  // 000000007520: BF8A0000
	v_mfma_f32_16x16x32_fp8_fp8 v[84:87], a[96:97], a[40:41], v[84:87]// 000000007524: D3F30054 1D525160
	buffer_load_dwordx4 a[88:91], v60, s[84:87], 0 offen       // 00000000752C: E05C1000 8095583C
	v_mfma_f32_16x16x32_fp8_fp8 v[84:87], a[98:99], a[42:43], v[84:87]// 000000007534: D3F30054 1D525562
	v_mfma_f32_16x16x32_fp8_fp8 v[84:87], a[100:101], a[44:45], v[84:87]// 00000000753C: D3F30054 1D525964
	ds_read_b128 a[0:3], v2                                    // 000000007544: DBFE0000 00000002
	ds_read_b128 a[4:7], v2 offset:64                          // 00000000754C: DBFE0040 04000002
	v_mfma_f32_16x16x32_fp8_fp8 v[84:87], a[102:103], a[46:47], v[84:87]// 000000007554: D3F30054 1D525D66
	v_mfma_f32_16x16x32_fp8_fp8 v[88:91], a[96:97], a[48:49], v[88:91]// 00000000755C: D3F30058 1D626160
	buffer_load_dwordx4 a[92:95], v60, s[84:87], 0 offen offset:1024// 000000007564: E05C1400 80955C3C
	v_mfma_f32_16x16x32_fp8_fp8 v[88:91], a[98:99], a[50:51], v[88:91]// 00000000756C: D3F30058 1D626562
	v_mfma_f32_16x16x32_fp8_fp8 v[88:91], a[100:101], a[52:53], v[88:91]// 000000007574: D3F30058 1D626964
	ds_read_b128 a[8:11], v2 offset:512                        // 00000000757C: DBFE0200 08000002
	ds_read_b128 a[12:15], v2 offset:576                       // 000000007584: DBFE0240 0C000002
	v_mfma_f32_16x16x32_fp8_fp8 v[88:91], a[102:103], a[54:55], v[88:91]// 00000000758C: D3F30058 1D626D66
	v_mfma_f32_16x16x32_fp8_fp8 v[92:95], a[96:97], a[56:57], v[92:95]// 000000007594: D3F3005C 1D727160
	v_mfma_f32_16x16x32_fp8_fp8 v[92:95], a[98:99], a[58:59], v[92:95]// 00000000759C: D3F3005C 1D727562
	v_mfma_f32_16x16x32_fp8_fp8 v[92:95], a[100:101], a[60:61], v[92:95]// 0000000075A4: D3F3005C 1D727964
	ds_read_b128 a[16:19], v2 offset:1024                      // 0000000075AC: DBFE0400 10000002
	ds_read_b128 a[20:23], v2 offset:1088                      // 0000000075B4: DBFE0440 14000002
	v_mfma_f32_16x16x32_fp8_fp8 v[92:95], a[102:103], a[62:63], v[92:95]// 0000000075BC: D3F3005C 1D727D66
	v_mfma_f32_16x16x32_fp8_fp8 v[96:99], a[96:97], a[64:65], v[96:99]// 0000000075C4: D3F30060 1D828160
	s_add_u32 s60, 0x180, s80                                  // 0000000075CC: 803C50FF 00000180
	s_cmp_lt_u32 s60, s81                                      // 0000000075D4: BF0A513C
	s_cselect_b32 s57, s57, 0                                  // 0000000075D8: 85398039
	v_mfma_f32_16x16x32_fp8_fp8 v[96:99], a[98:99], a[66:67], v[96:99]// 0000000075DC: D3F30060 1D828562
	s_add_u32 s60, 0x100, s80                                  // 0000000075E4: 803C50FF 00000100
	s_cmp_lt_u32 s60, s81                                      // 0000000075EC: BF0A513C
	s_cselect_b32 s58, s58, 0                                  // 0000000075F0: 853A803A
	v_mfma_f32_16x16x32_fp8_fp8 v[96:99], a[100:101], a[68:69], v[96:99]// 0000000075F4: D3F30060 1D828964
	ds_read_b128 a[24:27], v2 offset:1536                      // 0000000075FC: DBFE0600 18000002
	ds_read_b128 a[28:31], v2 offset:1600                      // 000000007604: DBFE0640 1C000002
	s_add_u32 s60, 0x100, s80                                  // 00000000760C: 803C50FF 00000100
	s_cmp_lt_u32 s60, s81                                      // 000000007614: BF0A513C
	s_cselect_b32 s83, s83, 0                                  // 000000007618: 85538053
	v_mfma_f32_16x16x32_fp8_fp8 v[96:99], a[102:103], a[70:71], v[96:99]// 00000000761C: D3F30060 1D828D66
	s_add_u32 s24, s58, s24                                    // 000000007624: 8018183A
	s_addc_u32 s25, 0, s25                                     // 000000007628: 82191980
	v_mfma_f32_16x16x32_fp8_fp8 v[100:103], a[96:97], a[72:73], v[100:103]// 00000000762C: D3F30064 1D929160
	s_add_u32 s20, s57, s20                                    // 000000007634: 80141439
	s_addc_u32 s21, 0, s21                                     // 000000007638: 82151580
	v_mfma_f32_16x16x32_fp8_fp8 v[100:103], a[98:99], a[74:75], v[100:103]// 00000000763C: D3F30064 1D929562
	s_add_u32 s84, s83, s84                                    // 000000007644: 80545453
	s_addc_u32 s85, 0, s85                                     // 000000007648: 82555580
	v_mfma_f32_16x16x32_fp8_fp8 v[100:103], a[100:101], a[76:77], v[100:103]// 00000000764C: D3F30064 1D929964
	ds_read_b128 a[32:35], v2 offset:2048                      // 000000007654: DBFE0800 20000002
	ds_read_b128 a[36:39], v2 offset:2112                      // 00000000765C: DBFE0840 24000002
	v_mfma_f32_16x16x32_fp8_fp8 v[100:103], a[102:103], a[78:79], v[100:103]// 000000007664: D3F30064 1D929D66
	s_addk_i32 s80, 0x80                                       // 00000000766C: B7500080
	s_cmp_lt_i32 s80, s81                                      // 000000007670: BF045150
	s_cbranch_scc0 label_1322                                  // 000000007674: BF840001
	s_branch label_0F1F                                        // 000000007678: BF82FBFD

000000000000767c <label_1322>:
	v_mul_f32_dpp v64, v24, v64 row_newbcast:0 row_mask:0xf bank_mask:0xf// 00000000767C: 0A8080FA FF015018
	v_mul_f32_dpp v65, v24, v65 row_newbcast:1 row_mask:0xf bank_mask:0xf// 000000007684: 0A8282FA FF015118
	v_mul_f32_dpp v66, v24, v66 row_newbcast:2 row_mask:0xf bank_mask:0xf// 00000000768C: 0A8484FA FF015218
	v_mul_f32_dpp v67, v24, v67 row_newbcast:3 row_mask:0xf bank_mask:0xf// 000000007694: 0A8686FA FF015318
	v_mul_f32_dpp v68, v24, v68 row_newbcast:0 row_mask:0xf bank_mask:0xf// 00000000769C: 0A8888FA FF015018
	v_mul_f32_dpp v69, v24, v69 row_newbcast:1 row_mask:0xf bank_mask:0xf// 0000000076A4: 0A8A8AFA FF015118
	v_mul_f32_dpp v70, v24, v70 row_newbcast:2 row_mask:0xf bank_mask:0xf// 0000000076AC: 0A8C8CFA FF015218
	v_mul_f32_dpp v71, v24, v71 row_newbcast:3 row_mask:0xf bank_mask:0xf// 0000000076B4: 0A8E8EFA FF015318
	v_mul_f32_dpp v72, v24, v72 row_newbcast:0 row_mask:0xf bank_mask:0xf// 0000000076BC: 0A9090FA FF015018
	v_mul_f32_dpp v73, v24, v73 row_newbcast:1 row_mask:0xf bank_mask:0xf// 0000000076C4: 0A9292FA FF015118
	v_mul_f32_dpp v74, v24, v74 row_newbcast:2 row_mask:0xf bank_mask:0xf// 0000000076CC: 0A9494FA FF015218
	v_mul_f32_dpp v75, v24, v75 row_newbcast:3 row_mask:0xf bank_mask:0xf// 0000000076D4: 0A9696FA FF015318
	v_mul_f32_dpp v76, v24, v76 row_newbcast:0 row_mask:0xf bank_mask:0xf// 0000000076DC: 0A9898FA FF015018
	v_mul_f32_dpp v77, v24, v77 row_newbcast:1 row_mask:0xf bank_mask:0xf// 0000000076E4: 0A9A9AFA FF015118
	v_mul_f32_dpp v78, v24, v78 row_newbcast:2 row_mask:0xf bank_mask:0xf// 0000000076EC: 0A9C9CFA FF015218
	v_mul_f32_dpp v79, v24, v79 row_newbcast:3 row_mask:0xf bank_mask:0xf// 0000000076F4: 0A9E9EFA FF015318
	v_mul_f32_dpp v80, v24, v80 row_newbcast:0 row_mask:0xf bank_mask:0xf// 0000000076FC: 0AA0A0FA FF015018
	v_mul_f32_dpp v81, v24, v81 row_newbcast:1 row_mask:0xf bank_mask:0xf// 000000007704: 0AA2A2FA FF015118
	v_mul_f32_dpp v82, v24, v82 row_newbcast:2 row_mask:0xf bank_mask:0xf// 00000000770C: 0AA4A4FA FF015218
	v_mul_f32_dpp v83, v24, v83 row_newbcast:3 row_mask:0xf bank_mask:0xf// 000000007714: 0AA6A6FA FF015318
	v_mul_f32_dpp v84, v27, v84 row_newbcast:0 row_mask:0xf bank_mask:0xf// 00000000771C: 0AA8A8FA FF01501B
	v_mul_f32_dpp v85, v27, v85 row_newbcast:1 row_mask:0xf bank_mask:0xf// 000000007724: 0AAAAAFA FF01511B
	v_mul_f32_dpp v86, v27, v86 row_newbcast:2 row_mask:0xf bank_mask:0xf// 00000000772C: 0AACACFA FF01521B
	v_mul_f32_dpp v87, v27, v87 row_newbcast:3 row_mask:0xf bank_mask:0xf// 000000007734: 0AAEAEFA FF01531B
	v_mul_f32_dpp v88, v27, v88 row_newbcast:0 row_mask:0xf bank_mask:0xf// 00000000773C: 0AB0B0FA FF01501B
	v_mul_f32_dpp v89, v27, v89 row_newbcast:1 row_mask:0xf bank_mask:0xf// 000000007744: 0AB2B2FA FF01511B
	v_mul_f32_dpp v90, v27, v90 row_newbcast:2 row_mask:0xf bank_mask:0xf// 00000000774C: 0AB4B4FA FF01521B
	v_mul_f32_dpp v91, v27, v91 row_newbcast:3 row_mask:0xf bank_mask:0xf// 000000007754: 0AB6B6FA FF01531B
	v_mul_f32_dpp v92, v27, v92 row_newbcast:0 row_mask:0xf bank_mask:0xf// 00000000775C: 0AB8B8FA FF01501B
	v_mul_f32_dpp v93, v27, v93 row_newbcast:1 row_mask:0xf bank_mask:0xf// 000000007764: 0ABABAFA FF01511B
	v_mul_f32_dpp v94, v27, v94 row_newbcast:2 row_mask:0xf bank_mask:0xf// 00000000776C: 0ABCBCFA FF01521B
	v_mul_f32_dpp v95, v27, v95 row_newbcast:3 row_mask:0xf bank_mask:0xf// 000000007774: 0ABEBEFA FF01531B
	v_mul_f32_dpp v96, v27, v96 row_newbcast:0 row_mask:0xf bank_mask:0xf// 00000000777C: 0AC0C0FA FF01501B
	v_mul_f32_dpp v97, v27, v97 row_newbcast:1 row_mask:0xf bank_mask:0xf// 000000007784: 0AC2C2FA FF01511B
	v_mul_f32_dpp v98, v27, v98 row_newbcast:2 row_mask:0xf bank_mask:0xf// 00000000778C: 0AC4C4FA FF01521B
	v_mul_f32_dpp v99, v27, v99 row_newbcast:3 row_mask:0xf bank_mask:0xf// 000000007794: 0AC6C6FA FF01531B
	v_mul_f32_dpp v100, v27, v100 row_newbcast:0 row_mask:0xf bank_mask:0xf// 00000000779C: 0AC8C8FA FF01501B
	v_mul_f32_dpp v101, v27, v101 row_newbcast:1 row_mask:0xf bank_mask:0xf// 0000000077A4: 0ACACAFA FF01511B
	v_mul_f32_dpp v102, v27, v102 row_newbcast:2 row_mask:0xf bank_mask:0xf// 0000000077AC: 0ACCCCFA FF01521B
	v_mul_f32_dpp v103, v27, v103 row_newbcast:3 row_mask:0xf bank_mask:0xf// 0000000077B4: 0ACECEFA FF01531B
	v_mov_b32_e32 v4, v35                                      // 0000000077BC: 7E080323
	v_mov_b32_e32 v5, v4                                       // 0000000077C0: 7E0A0304
	v_pk_mul_f32 v[64:65], v[4:5], v[64:65]                    // 0000000077C4: D3B14040 18028104
	v_pk_mul_f32 v[84:85], v[4:5], v[84:85]                    // 0000000077CC: D3B14054 1802A904
	v_pk_mul_f32 v[66:67], v[4:5], v[66:67]                    // 0000000077D4: D3B14042 18028504
	v_pk_mul_f32 v[86:87], v[4:5], v[86:87]                    // 0000000077DC: D3B14056 1802AD04
	v_mov_b32_e32 v4, v36                                      // 0000000077E4: 7E080324
	v_mov_b32_e32 v5, v4                                       // 0000000077E8: 7E0A0304
	v_pk_mul_f32 v[68:69], v[4:5], v[68:69]                    // 0000000077EC: D3B14044 18028904
	v_pk_mul_f32 v[88:89], v[4:5], v[88:89]                    // 0000000077F4: D3B14058 1802B104
	v_pk_mul_f32 v[70:71], v[4:5], v[70:71]                    // 0000000077FC: D3B14046 18028D04
	v_pk_mul_f32 v[90:91], v[4:5], v[90:91]                    // 000000007804: D3B1405A 1802B504
	v_mov_b32_e32 v4, v37                                      // 00000000780C: 7E080325
	v_mov_b32_e32 v5, v4                                       // 000000007810: 7E0A0304
	v_pk_mul_f32 v[72:73], v[4:5], v[72:73]                    // 000000007814: D3B14048 18029104
	v_pk_mul_f32 v[92:93], v[4:5], v[92:93]                    // 00000000781C: D3B1405C 1802B904
	v_pk_mul_f32 v[74:75], v[4:5], v[74:75]                    // 000000007824: D3B1404A 18029504
	v_pk_mul_f32 v[94:95], v[4:5], v[94:95]                    // 00000000782C: D3B1405E 1802BD04
	v_mov_b32_e32 v4, v38                                      // 000000007834: 7E080326
	v_mov_b32_e32 v5, v4                                       // 000000007838: 7E0A0304
	v_pk_mul_f32 v[76:77], v[4:5], v[76:77]                    // 00000000783C: D3B1404C 18029904
	v_pk_mul_f32 v[96:97], v[4:5], v[96:97]                    // 000000007844: D3B14060 1802C104
	v_pk_mul_f32 v[78:79], v[4:5], v[78:79]                    // 00000000784C: D3B1404E 18029D04
	v_pk_mul_f32 v[98:99], v[4:5], v[98:99]                    // 000000007854: D3B14062 1802C504
	v_mov_b32_e32 v4, v39                                      // 00000000785C: 7E080327
	v_mov_b32_e32 v5, v4                                       // 000000007860: 7E0A0304
	v_pk_mul_f32 v[80:81], v[4:5], v[80:81]                    // 000000007864: D3B14050 1802A104
	v_pk_mul_f32 v[100:101], v[4:5], v[100:101]                // 00000000786C: D3B14064 1802C904
	v_pk_mul_f32 v[82:83], v[4:5], v[82:83]                    // 000000007874: D3B14052 1802A504
	v_pk_mul_f32 v[102:103], v[4:5], v[102:103]                // 00000000787C: D3B14066 1802CD04
	s_cmp_eq_u32 s88, 0                                        // 000000007884: BF068058
	s_cbranch_scc0 label_1769                                  // 000000007888: BF8403C3
	s_cmp_eq_u32 s89, 0                                        // 00000000788C: BF068059
	s_cbranch_scc1 label_1475                                  // 000000007890: BF8500CD
	v_mov_b32_e32 v8, v1                                       // 000000007894: 7E100301
	v_mov_b32_e32 v9, v1                                       // 000000007898: 7E120301
	s_mov_b32 s60, s6                                          // 00000000789C: BEBC0006
	s_mov_b32 s61, s6                                          // 0000000078A0: BEBD0006
	v_pk_mul_f32 v[4:5], v[64:65], v[64:65]                    // 0000000078A4: D3B14004 18028140
	v_pk_mul_f32 v[6:7], v[66:67], v[66:67]                    // 0000000078AC: D3B14006 18028542
	v_pk_fma_f32 v[4:5], v[4:5], s[78:79], v[8:9]              // 0000000078B4: D3B04004 1C209D04
	v_pk_fma_f32 v[6:7], v[6:7], s[78:79], v[8:9]              // 0000000078BC: D3B04006 1C209D06
	v_pk_mul_f32 v[4:5], v[4:5], v[64:65]                      // 0000000078C4: D3B14004 18028104
	v_pk_mul_f32 v[6:7], v[6:7], v[66:67]                      // 0000000078CC: D3B14006 18028506
	v_pk_mul_f32 v[4:5], v[4:5], s[60:61]                      // 0000000078D4: D3B14004 18007904
	v_pk_mul_f32 v[6:7], v[6:7], s[60:61]                      // 0000000078DC: D3B14006 18007906
	v_exp_f32_e32 v4, v4                                       // 0000000078E4: 7E084104
	v_exp_f32_e32 v5, v5                                       // 0000000078E8: 7E0A4105
	v_exp_f32_e32 v6, v6                                       // 0000000078EC: 7E0C4106
	v_exp_f32_e32 v7, v7                                       // 0000000078F0: 7E0E4107
	v_add_f32_e64 v4, v4, 1.0                                  // 0000000078F4: D1010004 0001E504
	v_add_f32_e64 v5, v5, 1.0                                  // 0000000078FC: D1010005 0001E505
	v_add_f32_e64 v6, v6, 1.0                                  // 000000007904: D1010006 0001E506
	v_add_f32_e64 v7, v7, 1.0                                  // 00000000790C: D1010007 0001E507
	v_rcp_f32_e32 v4, v4                                       // 000000007914: 7E084504
	v_rcp_f32_e32 v5, v5                                       // 000000007918: 7E0A4505
	v_rcp_f32_e32 v6, v6                                       // 00000000791C: 7E0C4506
	v_rcp_f32_e32 v7, v7                                       // 000000007920: 7E0E4507
	v_mul_f32_e32 v64, v64, v4                                 // 000000007924: 0A800940
	v_mul_f32_e32 v65, v65, v5                                 // 000000007928: 0A820B41
	v_mul_f32_e32 v66, v66, v6                                 // 00000000792C: 0A840D42
	v_mul_f32_e32 v67, v67, v7                                 // 000000007930: 0A860F43
	v_mul_f32_e32 v64, v64, v84                                // 000000007934: 0A80A940
	v_mul_f32_e32 v65, v65, v85                                // 000000007938: 0A82AB41
	v_mul_f32_e32 v66, v66, v86                                // 00000000793C: 0A84AD42
	v_mul_f32_e32 v67, v67, v87                                // 000000007940: 0A86AF43
	v_pk_mul_f32 v[4:5], v[68:69], v[68:69]                    // 000000007944: D3B14004 18028944
	v_pk_mul_f32 v[6:7], v[70:71], v[70:71]                    // 00000000794C: D3B14006 18028D46
	v_pk_fma_f32 v[4:5], v[4:5], s[78:79], v[8:9]              // 000000007954: D3B04004 1C209D04
	v_pk_fma_f32 v[6:7], v[6:7], s[78:79], v[8:9]              // 00000000795C: D3B04006 1C209D06
	v_pk_mul_f32 v[4:5], v[4:5], v[68:69]                      // 000000007964: D3B14004 18028904
	v_pk_mul_f32 v[6:7], v[6:7], v[70:71]                      // 00000000796C: D3B14006 18028D06
	v_pk_mul_f32 v[4:5], v[4:5], s[60:61]                      // 000000007974: D3B14004 18007904
	v_pk_mul_f32 v[6:7], v[6:7], s[60:61]                      // 00000000797C: D3B14006 18007906
	v_exp_f32_e32 v4, v4                                       // 000000007984: 7E084104
	v_exp_f32_e32 v5, v5                                       // 000000007988: 7E0A4105
	v_exp_f32_e32 v6, v6                                       // 00000000798C: 7E0C4106
	v_exp_f32_e32 v7, v7                                       // 000000007990: 7E0E4107
	v_add_f32_e64 v4, v4, 1.0                                  // 000000007994: D1010004 0001E504
	v_add_f32_e64 v5, v5, 1.0                                  // 00000000799C: D1010005 0001E505
	v_add_f32_e64 v6, v6, 1.0                                  // 0000000079A4: D1010006 0001E506
	v_add_f32_e64 v7, v7, 1.0                                  // 0000000079AC: D1010007 0001E507
	v_rcp_f32_e32 v4, v4                                       // 0000000079B4: 7E084504
	v_rcp_f32_e32 v5, v5                                       // 0000000079B8: 7E0A4505
	v_rcp_f32_e32 v6, v6                                       // 0000000079BC: 7E0C4506
	v_rcp_f32_e32 v7, v7                                       // 0000000079C0: 7E0E4507
	v_mul_f32_e32 v68, v68, v4                                 // 0000000079C4: 0A880944
	v_mul_f32_e32 v69, v69, v5                                 // 0000000079C8: 0A8A0B45
	v_mul_f32_e32 v70, v70, v6                                 // 0000000079CC: 0A8C0D46
	v_mul_f32_e32 v71, v71, v7                                 // 0000000079D0: 0A8E0F47
	v_mul_f32_e32 v68, v68, v88                                // 0000000079D4: 0A88B144
	v_mul_f32_e32 v69, v69, v89                                // 0000000079D8: 0A8AB345
	v_mul_f32_e32 v70, v70, v90                                // 0000000079DC: 0A8CB546
	v_mul_f32_e32 v71, v71, v91                                // 0000000079E0: 0A8EB747
	v_pk_mul_f32 v[4:5], v[72:73], v[72:73]                    // 0000000079E4: D3B14004 18029148
	v_pk_mul_f32 v[6:7], v[74:75], v[74:75]                    // 0000000079EC: D3B14006 1802954A
	v_pk_fma_f32 v[4:5], v[4:5], s[78:79], v[8:9]              // 0000000079F4: D3B04004 1C209D04
	v_pk_fma_f32 v[6:7], v[6:7], s[78:79], v[8:9]              // 0000000079FC: D3B04006 1C209D06
	v_pk_mul_f32 v[4:5], v[4:5], v[72:73]                      // 000000007A04: D3B14004 18029104
	v_pk_mul_f32 v[6:7], v[6:7], v[74:75]                      // 000000007A0C: D3B14006 18029506
	v_pk_mul_f32 v[4:5], v[4:5], s[60:61]                      // 000000007A14: D3B14004 18007904
	v_pk_mul_f32 v[6:7], v[6:7], s[60:61]                      // 000000007A1C: D3B14006 18007906
	v_exp_f32_e32 v4, v4                                       // 000000007A24: 7E084104
	v_exp_f32_e32 v5, v5                                       // 000000007A28: 7E0A4105
	v_exp_f32_e32 v6, v6                                       // 000000007A2C: 7E0C4106
	v_exp_f32_e32 v7, v7                                       // 000000007A30: 7E0E4107
	v_add_f32_e64 v4, v4, 1.0                                  // 000000007A34: D1010004 0001E504
	v_add_f32_e64 v5, v5, 1.0                                  // 000000007A3C: D1010005 0001E505
	v_add_f32_e64 v6, v6, 1.0                                  // 000000007A44: D1010006 0001E506
	v_add_f32_e64 v7, v7, 1.0                                  // 000000007A4C: D1010007 0001E507
	v_rcp_f32_e32 v4, v4                                       // 000000007A54: 7E084504
	v_rcp_f32_e32 v5, v5                                       // 000000007A58: 7E0A4505
	v_rcp_f32_e32 v6, v6                                       // 000000007A5C: 7E0C4506
	v_rcp_f32_e32 v7, v7                                       // 000000007A60: 7E0E4507
	v_mul_f32_e32 v72, v72, v4                                 // 000000007A64: 0A900948
	v_mul_f32_e32 v73, v73, v5                                 // 000000007A68: 0A920B49
	v_mul_f32_e32 v74, v74, v6                                 // 000000007A6C: 0A940D4A
	v_mul_f32_e32 v75, v75, v7                                 // 000000007A70: 0A960F4B
	v_mul_f32_e32 v72, v72, v92                                // 000000007A74: 0A90B948
	v_mul_f32_e32 v73, v73, v93                                // 000000007A78: 0A92BB49
	v_mul_f32_e32 v74, v74, v94                                // 000000007A7C: 0A94BD4A
	v_mul_f32_e32 v75, v75, v95                                // 000000007A80: 0A96BF4B
	v_pk_mul_f32 v[4:5], v[76:77], v[76:77]                    // 000000007A84: D3B14004 1802994C
	v_pk_mul_f32 v[6:7], v[78:79], v[78:79]                    // 000000007A8C: D3B14006 18029D4E
	v_pk_fma_f32 v[4:5], v[4:5], s[78:79], v[8:9]              // 000000007A94: D3B04004 1C209D04
	v_pk_fma_f32 v[6:7], v[6:7], s[78:79], v[8:9]              // 000000007A9C: D3B04006 1C209D06
	v_pk_mul_f32 v[4:5], v[4:5], v[76:77]                      // 000000007AA4: D3B14004 18029904
	v_pk_mul_f32 v[6:7], v[6:7], v[78:79]                      // 000000007AAC: D3B14006 18029D06
	v_pk_mul_f32 v[4:5], v[4:5], s[60:61]                      // 000000007AB4: D3B14004 18007904
	v_pk_mul_f32 v[6:7], v[6:7], s[60:61]                      // 000000007ABC: D3B14006 18007906
	v_exp_f32_e32 v4, v4                                       // 000000007AC4: 7E084104
	v_exp_f32_e32 v5, v5                                       // 000000007AC8: 7E0A4105
	v_exp_f32_e32 v6, v6                                       // 000000007ACC: 7E0C4106
	v_exp_f32_e32 v7, v7                                       // 000000007AD0: 7E0E4107
	v_add_f32_e64 v4, v4, 1.0                                  // 000000007AD4: D1010004 0001E504
	v_add_f32_e64 v5, v5, 1.0                                  // 000000007ADC: D1010005 0001E505
	v_add_f32_e64 v6, v6, 1.0                                  // 000000007AE4: D1010006 0001E506
	v_add_f32_e64 v7, v7, 1.0                                  // 000000007AEC: D1010007 0001E507
	v_rcp_f32_e32 v4, v4                                       // 000000007AF4: 7E084504
	v_rcp_f32_e32 v5, v5                                       // 000000007AF8: 7E0A4505
	v_rcp_f32_e32 v6, v6                                       // 000000007AFC: 7E0C4506
	v_rcp_f32_e32 v7, v7                                       // 000000007B00: 7E0E4507
	v_mul_f32_e32 v76, v76, v4                                 // 000000007B04: 0A98094C
	v_mul_f32_e32 v77, v77, v5                                 // 000000007B08: 0A9A0B4D
	v_mul_f32_e32 v78, v78, v6                                 // 000000007B0C: 0A9C0D4E
	v_mul_f32_e32 v79, v79, v7                                 // 000000007B10: 0A9E0F4F
	v_mul_f32_e32 v76, v76, v96                                // 000000007B14: 0A98C14C
	v_mul_f32_e32 v77, v77, v97                                // 000000007B18: 0A9AC34D
	v_mul_f32_e32 v78, v78, v98                                // 000000007B1C: 0A9CC54E
	v_mul_f32_e32 v79, v79, v99                                // 000000007B20: 0A9EC74F
	v_pk_mul_f32 v[4:5], v[80:81], v[80:81]                    // 000000007B24: D3B14004 1802A150
	v_pk_mul_f32 v[6:7], v[82:83], v[82:83]                    // 000000007B2C: D3B14006 1802A552
	v_pk_fma_f32 v[4:5], v[4:5], s[78:79], v[8:9]              // 000000007B34: D3B04004 1C209D04
	v_pk_fma_f32 v[6:7], v[6:7], s[78:79], v[8:9]              // 000000007B3C: D3B04006 1C209D06
	v_pk_mul_f32 v[4:5], v[4:5], v[80:81]                      // 000000007B44: D3B14004 1802A104
	v_pk_mul_f32 v[6:7], v[6:7], v[82:83]                      // 000000007B4C: D3B14006 1802A506
	v_pk_mul_f32 v[4:5], v[4:5], s[60:61]                      // 000000007B54: D3B14004 18007904
	v_pk_mul_f32 v[6:7], v[6:7], s[60:61]                      // 000000007B5C: D3B14006 18007906
	v_exp_f32_e32 v4, v4                                       // 000000007B64: 7E084104
	v_exp_f32_e32 v5, v5                                       // 000000007B68: 7E0A4105
	v_exp_f32_e32 v6, v6                                       // 000000007B6C: 7E0C4106
	v_exp_f32_e32 v7, v7                                       // 000000007B70: 7E0E4107
	v_add_f32_e64 v4, v4, 1.0                                  // 000000007B74: D1010004 0001E504
	v_add_f32_e64 v5, v5, 1.0                                  // 000000007B7C: D1010005 0001E505
	v_add_f32_e64 v6, v6, 1.0                                  // 000000007B84: D1010006 0001E506
	v_add_f32_e64 v7, v7, 1.0                                  // 000000007B8C: D1010007 0001E507
	v_rcp_f32_e32 v4, v4                                       // 000000007B94: 7E084504
	v_rcp_f32_e32 v5, v5                                       // 000000007B98: 7E0A4505
	v_rcp_f32_e32 v6, v6                                       // 000000007B9C: 7E0C4506
	v_rcp_f32_e32 v7, v7                                       // 000000007BA0: 7E0E4507
	v_mul_f32_e32 v80, v80, v4                                 // 000000007BA4: 0AA00950
	v_mul_f32_e32 v81, v81, v5                                 // 000000007BA8: 0AA20B51
	v_mul_f32_e32 v82, v82, v6                                 // 000000007BAC: 0AA40D52
	v_mul_f32_e32 v83, v83, v7                                 // 000000007BB0: 0AA60F53
	v_mul_f32_e32 v80, v80, v100                               // 000000007BB4: 0AA0C950
	v_mul_f32_e32 v81, v81, v101                               // 000000007BB8: 0AA2CB51
	v_mul_f32_e32 v82, v82, v102                               // 000000007BBC: 0AA4CD52
	v_mul_f32_e32 v83, v83, v103                               // 000000007BC0: 0AA6CF53
	s_branch label_1515                                        // 000000007BC4: BF8200A0

0000000000007bc8 <label_1475>:
	v_mul_f32_e64 v4, -v64, s6                                 // 000000007BC8: D1050004 20000D40
	v_mul_f32_e64 v5, -v65, s6                                 // 000000007BD0: D1050005 20000D41
	v_mul_f32_e64 v6, -v66, s6                                 // 000000007BD8: D1050006 20000D42
	v_mul_f32_e64 v7, -v67, s6                                 // 000000007BE0: D1050007 20000D43
	v_exp_f32_e32 v4, v4                                       // 000000007BE8: 7E084104
	v_exp_f32_e32 v5, v5                                       // 000000007BEC: 7E0A4105
	v_exp_f32_e32 v6, v6                                       // 000000007BF0: 7E0C4106
	v_exp_f32_e32 v7, v7                                       // 000000007BF4: 7E0E4107
	v_add_f32_e64 v4, v4, 1.0                                  // 000000007BF8: D1010004 0001E504
	v_add_f32_e64 v5, v5, 1.0                                  // 000000007C00: D1010005 0001E505
	v_add_f32_e64 v6, v6, 1.0                                  // 000000007C08: D1010006 0001E506
	v_add_f32_e64 v7, v7, 1.0                                  // 000000007C10: D1010007 0001E507
	v_rcp_f32_e32 v4, v4                                       // 000000007C18: 7E084504
	v_rcp_f32_e32 v5, v5                                       // 000000007C1C: 7E0A4505
	v_rcp_f32_e32 v6, v6                                       // 000000007C20: 7E0C4506
	v_rcp_f32_e32 v7, v7                                       // 000000007C24: 7E0E4507
	v_mul_f32_e32 v64, v64, v4                                 // 000000007C28: 0A800940
	v_mul_f32_e32 v65, v65, v5                                 // 000000007C2C: 0A820B41
	v_mul_f32_e32 v66, v66, v6                                 // 000000007C30: 0A840D42
	v_mul_f32_e32 v67, v67, v7                                 // 000000007C34: 0A860F43
	v_mul_f32_e32 v64, v64, v84                                // 000000007C38: 0A80A940
	v_mul_f32_e32 v65, v65, v85                                // 000000007C3C: 0A82AB41
	v_mul_f32_e32 v66, v66, v86                                // 000000007C40: 0A84AD42
	v_mul_f32_e32 v67, v67, v87                                // 000000007C44: 0A86AF43
	v_mul_f32_e64 v4, -v68, s6                                 // 000000007C48: D1050004 20000D44
	v_mul_f32_e64 v5, -v69, s6                                 // 000000007C50: D1050005 20000D45
	v_mul_f32_e64 v6, -v70, s6                                 // 000000007C58: D1050006 20000D46
	v_mul_f32_e64 v7, -v71, s6                                 // 000000007C60: D1050007 20000D47
	v_exp_f32_e32 v4, v4                                       // 000000007C68: 7E084104
	v_exp_f32_e32 v5, v5                                       // 000000007C6C: 7E0A4105
	v_exp_f32_e32 v6, v6                                       // 000000007C70: 7E0C4106
	v_exp_f32_e32 v7, v7                                       // 000000007C74: 7E0E4107
	v_add_f32_e64 v4, v4, 1.0                                  // 000000007C78: D1010004 0001E504
	v_add_f32_e64 v5, v5, 1.0                                  // 000000007C80: D1010005 0001E505
	v_add_f32_e64 v6, v6, 1.0                                  // 000000007C88: D1010006 0001E506
	v_add_f32_e64 v7, v7, 1.0                                  // 000000007C90: D1010007 0001E507
	v_rcp_f32_e32 v4, v4                                       // 000000007C98: 7E084504
	v_rcp_f32_e32 v5, v5                                       // 000000007C9C: 7E0A4505
	v_rcp_f32_e32 v6, v6                                       // 000000007CA0: 7E0C4506
	v_rcp_f32_e32 v7, v7                                       // 000000007CA4: 7E0E4507
	v_mul_f32_e32 v68, v68, v4                                 // 000000007CA8: 0A880944
	v_mul_f32_e32 v69, v69, v5                                 // 000000007CAC: 0A8A0B45
	v_mul_f32_e32 v70, v70, v6                                 // 000000007CB0: 0A8C0D46
	v_mul_f32_e32 v71, v71, v7                                 // 000000007CB4: 0A8E0F47
	v_mul_f32_e32 v68, v68, v88                                // 000000007CB8: 0A88B144
	v_mul_f32_e32 v69, v69, v89                                // 000000007CBC: 0A8AB345
	v_mul_f32_e32 v70, v70, v90                                // 000000007CC0: 0A8CB546
	v_mul_f32_e32 v71, v71, v91                                // 000000007CC4: 0A8EB747
	v_mul_f32_e64 v4, -v72, s6                                 // 000000007CC8: D1050004 20000D48
	v_mul_f32_e64 v5, -v73, s6                                 // 000000007CD0: D1050005 20000D49
	v_mul_f32_e64 v6, -v74, s6                                 // 000000007CD8: D1050006 20000D4A
	v_mul_f32_e64 v7, -v75, s6                                 // 000000007CE0: D1050007 20000D4B
	v_exp_f32_e32 v4, v4                                       // 000000007CE8: 7E084104
	v_exp_f32_e32 v5, v5                                       // 000000007CEC: 7E0A4105
	v_exp_f32_e32 v6, v6                                       // 000000007CF0: 7E0C4106
	v_exp_f32_e32 v7, v7                                       // 000000007CF4: 7E0E4107
	v_add_f32_e64 v4, v4, 1.0                                  // 000000007CF8: D1010004 0001E504
	v_add_f32_e64 v5, v5, 1.0                                  // 000000007D00: D1010005 0001E505
	v_add_f32_e64 v6, v6, 1.0                                  // 000000007D08: D1010006 0001E506
	v_add_f32_e64 v7, v7, 1.0                                  // 000000007D10: D1010007 0001E507
	v_rcp_f32_e32 v4, v4                                       // 000000007D18: 7E084504
	v_rcp_f32_e32 v5, v5                                       // 000000007D1C: 7E0A4505
	v_rcp_f32_e32 v6, v6                                       // 000000007D20: 7E0C4506
	v_rcp_f32_e32 v7, v7                                       // 000000007D24: 7E0E4507
	v_mul_f32_e32 v72, v72, v4                                 // 000000007D28: 0A900948
	v_mul_f32_e32 v73, v73, v5                                 // 000000007D2C: 0A920B49
	v_mul_f32_e32 v74, v74, v6                                 // 000000007D30: 0A940D4A
	v_mul_f32_e32 v75, v75, v7                                 // 000000007D34: 0A960F4B
	v_mul_f32_e32 v72, v72, v92                                // 000000007D38: 0A90B948
	v_mul_f32_e32 v73, v73, v93                                // 000000007D3C: 0A92BB49
	v_mul_f32_e32 v74, v74, v94                                // 000000007D40: 0A94BD4A
	v_mul_f32_e32 v75, v75, v95                                // 000000007D44: 0A96BF4B
	v_mul_f32_e64 v4, -v76, s6                                 // 000000007D48: D1050004 20000D4C
	v_mul_f32_e64 v5, -v77, s6                                 // 000000007D50: D1050005 20000D4D
	v_mul_f32_e64 v6, -v78, s6                                 // 000000007D58: D1050006 20000D4E
	v_mul_f32_e64 v7, -v79, s6                                 // 000000007D60: D1050007 20000D4F
	v_exp_f32_e32 v4, v4                                       // 000000007D68: 7E084104
	v_exp_f32_e32 v5, v5                                       // 000000007D6C: 7E0A4105
	v_exp_f32_e32 v6, v6                                       // 000000007D70: 7E0C4106
	v_exp_f32_e32 v7, v7                                       // 000000007D74: 7E0E4107
	v_add_f32_e64 v4, v4, 1.0                                  // 000000007D78: D1010004 0001E504
	v_add_f32_e64 v5, v5, 1.0                                  // 000000007D80: D1010005 0001E505
	v_add_f32_e64 v6, v6, 1.0                                  // 000000007D88: D1010006 0001E506
	v_add_f32_e64 v7, v7, 1.0                                  // 000000007D90: D1010007 0001E507
	v_rcp_f32_e32 v4, v4                                       // 000000007D98: 7E084504
	v_rcp_f32_e32 v5, v5                                       // 000000007D9C: 7E0A4505
	v_rcp_f32_e32 v6, v6                                       // 000000007DA0: 7E0C4506
	v_rcp_f32_e32 v7, v7                                       // 000000007DA4: 7E0E4507
	v_mul_f32_e32 v76, v76, v4                                 // 000000007DA8: 0A98094C
	v_mul_f32_e32 v77, v77, v5                                 // 000000007DAC: 0A9A0B4D
	v_mul_f32_e32 v78, v78, v6                                 // 000000007DB0: 0A9C0D4E
	v_mul_f32_e32 v79, v79, v7                                 // 000000007DB4: 0A9E0F4F
	v_mul_f32_e32 v76, v76, v96                                // 000000007DB8: 0A98C14C
	v_mul_f32_e32 v77, v77, v97                                // 000000007DBC: 0A9AC34D
	v_mul_f32_e32 v78, v78, v98                                // 000000007DC0: 0A9CC54E
	v_mul_f32_e32 v79, v79, v99                                // 000000007DC4: 0A9EC74F
	v_mul_f32_e64 v4, -v80, s6                                 // 000000007DC8: D1050004 20000D50
	v_mul_f32_e64 v5, -v81, s6                                 // 000000007DD0: D1050005 20000D51
	v_mul_f32_e64 v6, -v82, s6                                 // 000000007DD8: D1050006 20000D52
	v_mul_f32_e64 v7, -v83, s6                                 // 000000007DE0: D1050007 20000D53
	v_exp_f32_e32 v4, v4                                       // 000000007DE8: 7E084104
	v_exp_f32_e32 v5, v5                                       // 000000007DEC: 7E0A4105
	v_exp_f32_e32 v6, v6                                       // 000000007DF0: 7E0C4106
	v_exp_f32_e32 v7, v7                                       // 000000007DF4: 7E0E4107
	v_add_f32_e64 v4, v4, 1.0                                  // 000000007DF8: D1010004 0001E504
	v_add_f32_e64 v5, v5, 1.0                                  // 000000007E00: D1010005 0001E505
	v_add_f32_e64 v6, v6, 1.0                                  // 000000007E08: D1010006 0001E506
	v_add_f32_e64 v7, v7, 1.0                                  // 000000007E10: D1010007 0001E507
	v_rcp_f32_e32 v4, v4                                       // 000000007E18: 7E084504
	v_rcp_f32_e32 v5, v5                                       // 000000007E1C: 7E0A4505
	v_rcp_f32_e32 v6, v6                                       // 000000007E20: 7E0C4506
	v_rcp_f32_e32 v7, v7                                       // 000000007E24: 7E0E4507
	v_mul_f32_e32 v80, v80, v4                                 // 000000007E28: 0AA00950
	v_mul_f32_e32 v81, v81, v5                                 // 000000007E2C: 0AA20B51
	v_mul_f32_e32 v82, v82, v6                                 // 000000007E30: 0AA40D52
	v_mul_f32_e32 v83, v83, v7                                 // 000000007E34: 0AA60F53
	v_mul_f32_e32 v80, v80, v100                               // 000000007E38: 0AA0C950
	v_mul_f32_e32 v81, v81, v101                               // 000000007E3C: 0AA2CB51
	v_mul_f32_e32 v82, v82, v102                               // 000000007E40: 0AA4CD52
	v_mul_f32_e32 v83, v83, v103                               // 000000007E44: 0AA6CF53

0000000000007e48 <label_1515>:
	v_cmp_u_f32_e64 s[46:47], v64, v64                         // 000000007E48: D048002E 00028140
	v_add3_u32 v16, v64, v19, 1                                // 000000007E50: D1FF0010 02062740
	v_cndmask_b32_e64 v4, v16, v18, s[46:47]                   // 000000007E58: D1000004 00BA2510
	v_cmp_u_f32_e64 s[46:47], v65, v65                         // 000000007E60: D048002E 00028341
	v_add3_u32 v16, v65, v19, 1                                // 000000007E68: D1FF0010 02062741
	v_cndmask_b32_e64 v5, v16, v18, s[46:47]                   // 000000007E70: D1000005 00BA2510
	v_perm_b32 v64, v5, v4, s52                                // 000000007E78: D1ED0040 00D20905
	v_cmp_u_f32_e64 s[46:47], v66, v66                         // 000000007E80: D048002E 00028542
	v_add3_u32 v16, v66, v19, 1                                // 000000007E88: D1FF0010 02062742
	v_cndmask_b32_e64 v4, v16, v18, s[46:47]                   // 000000007E90: D1000004 00BA2510
	v_cmp_u_f32_e64 s[46:47], v67, v67                         // 000000007E98: D048002E 00028743
	v_add3_u32 v16, v67, v19, 1                                // 000000007EA0: D1FF0010 02062743
	v_cndmask_b32_e64 v5, v16, v18, s[46:47]                   // 000000007EA8: D1000005 00BA2510
	v_perm_b32 v65, v5, v4, s52                                // 000000007EB0: D1ED0041 00D20905
	v_cmp_u_f32_e64 s[46:47], v68, v68                         // 000000007EB8: D048002E 00028944
	v_add3_u32 v16, v68, v19, 1                                // 000000007EC0: D1FF0010 02062744
	v_cndmask_b32_e64 v4, v16, v18, s[46:47]                   // 000000007EC8: D1000004 00BA2510
	v_cmp_u_f32_e64 s[46:47], v69, v69                         // 000000007ED0: D048002E 00028B45
	v_add3_u32 v16, v69, v19, 1                                // 000000007ED8: D1FF0010 02062745
	v_cndmask_b32_e64 v5, v16, v18, s[46:47]                   // 000000007EE0: D1000005 00BA2510
	v_perm_b32 v66, v5, v4, s52                                // 000000007EE8: D1ED0042 00D20905
	v_cmp_u_f32_e64 s[46:47], v70, v70                         // 000000007EF0: D048002E 00028D46
	v_add3_u32 v16, v70, v19, 1                                // 000000007EF8: D1FF0010 02062746
	v_cndmask_b32_e64 v4, v16, v18, s[46:47]                   // 000000007F00: D1000004 00BA2510
	v_cmp_u_f32_e64 s[46:47], v71, v71                         // 000000007F08: D048002E 00028F47
	v_add3_u32 v16, v71, v19, 1                                // 000000007F10: D1FF0010 02062747
	v_cndmask_b32_e64 v5, v16, v18, s[46:47]                   // 000000007F18: D1000005 00BA2510
	v_perm_b32 v67, v5, v4, s52                                // 000000007F20: D1ED0043 00D20905
	v_cmp_u_f32_e64 s[46:47], v72, v72                         // 000000007F28: D048002E 00029148
	v_add3_u32 v16, v72, v19, 1                                // 000000007F30: D1FF0010 02062748
	v_cndmask_b32_e64 v4, v16, v18, s[46:47]                   // 000000007F38: D1000004 00BA2510
	v_cmp_u_f32_e64 s[46:47], v73, v73                         // 000000007F40: D048002E 00029349
	v_add3_u32 v16, v73, v19, 1                                // 000000007F48: D1FF0010 02062749
	v_cndmask_b32_e64 v5, v16, v18, s[46:47]                   // 000000007F50: D1000005 00BA2510
	v_perm_b32 v68, v5, v4, s52                                // 000000007F58: D1ED0044 00D20905
	v_cmp_u_f32_e64 s[46:47], v74, v74                         // 000000007F60: D048002E 0002954A
	v_add3_u32 v16, v74, v19, 1                                // 000000007F68: D1FF0010 0206274A
	v_cndmask_b32_e64 v4, v16, v18, s[46:47]                   // 000000007F70: D1000004 00BA2510
	v_cmp_u_f32_e64 s[46:47], v75, v75                         // 000000007F78: D048002E 0002974B
	v_add3_u32 v16, v75, v19, 1                                // 000000007F80: D1FF0010 0206274B
	v_cndmask_b32_e64 v5, v16, v18, s[46:47]                   // 000000007F88: D1000005 00BA2510
	v_perm_b32 v69, v5, v4, s52                                // 000000007F90: D1ED0045 00D20905
	v_cmp_u_f32_e64 s[46:47], v76, v76                         // 000000007F98: D048002E 0002994C
	v_add3_u32 v16, v76, v19, 1                                // 000000007FA0: D1FF0010 0206274C
	v_cndmask_b32_e64 v4, v16, v18, s[46:47]                   // 000000007FA8: D1000004 00BA2510
	v_cmp_u_f32_e64 s[46:47], v77, v77                         // 000000007FB0: D048002E 00029B4D
	v_add3_u32 v16, v77, v19, 1                                // 000000007FB8: D1FF0010 0206274D
	v_cndmask_b32_e64 v5, v16, v18, s[46:47]                   // 000000007FC0: D1000005 00BA2510
	v_perm_b32 v70, v5, v4, s52                                // 000000007FC8: D1ED0046 00D20905
	v_cmp_u_f32_e64 s[46:47], v78, v78                         // 000000007FD0: D048002E 00029D4E
	v_add3_u32 v16, v78, v19, 1                                // 000000007FD8: D1FF0010 0206274E
	v_cndmask_b32_e64 v4, v16, v18, s[46:47]                   // 000000007FE0: D1000004 00BA2510
	v_cmp_u_f32_e64 s[46:47], v79, v79                         // 000000007FE8: D048002E 00029F4F
	v_add3_u32 v16, v79, v19, 1                                // 000000007FF0: D1FF0010 0206274F
	v_cndmask_b32_e64 v5, v16, v18, s[46:47]                   // 000000007FF8: D1000005 00BA2510
	v_perm_b32 v71, v5, v4, s52                                // 000000008000: D1ED0047 00D20905
	v_cmp_u_f32_e64 s[46:47], v80, v80                         // 000000008008: D048002E 0002A150
	v_add3_u32 v16, v80, v19, 1                                // 000000008010: D1FF0010 02062750
	v_cndmask_b32_e64 v4, v16, v18, s[46:47]                   // 000000008018: D1000004 00BA2510
	v_cmp_u_f32_e64 s[46:47], v81, v81                         // 000000008020: D048002E 0002A351
	v_add3_u32 v16, v81, v19, 1                                // 000000008028: D1FF0010 02062751
	v_cndmask_b32_e64 v5, v16, v18, s[46:47]                   // 000000008030: D1000005 00BA2510
	v_perm_b32 v72, v5, v4, s52                                // 000000008038: D1ED0048 00D20905
	v_cmp_u_f32_e64 s[46:47], v82, v82                         // 000000008040: D048002E 0002A552
	v_add3_u32 v16, v82, v19, 1                                // 000000008048: D1FF0010 02062752
	v_cndmask_b32_e64 v4, v16, v18, s[46:47]                   // 000000008050: D1000004 00BA2510
	v_cmp_u_f32_e64 s[46:47], v83, v83                         // 000000008058: D048002E 0002A753
	v_add3_u32 v16, v83, v19, 1                                // 000000008060: D1FF0010 02062753
	v_cndmask_b32_e64 v5, v16, v18, s[46:47]                   // 000000008068: D1000005 00BA2510
	v_perm_b32 v73, v5, v4, s52                                // 000000008070: D1ED0049 00D20905
	ds_write_b64 v20, v[64:65]                                 // 000000008078: D89A0000 00004014
	ds_write_b64 v20, v[66:67] offset:2176                     // 000000008080: D89A0880 00004214
	ds_write_b64 v20, v[68:69] offset:4352                     // 000000008088: D89A1100 00004414
	ds_write_b64 v20, v[70:71] offset:6528                     // 000000008090: D89A1980 00004614
	ds_write_b64 v20, v[72:73] offset:8704                     // 000000008098: D89A2200 00004814
	v_lshrrev_b32_e32 v4, 5, v0                                // 0000000080A0: 20080085
	v_xor_b32_e32 v5, 1, v4                                    // 0000000080A4: 2A0A0881
	s_mul_i32 s60, s65, 2                                      // 0000000080A8: 923C8241
	s_cmp_eq_u32 s88, 0                                        // 0000000080AC: BF068058
	s_cselect_b32 s61, 1, 4                                    // 0000000080B0: 853D8481
	s_mul_i32 s60, s61, s60                                    // 0000000080B4: 923C3C3D
	v_readlane_b32 s82, v3, 0                                  // 0000000080B8: D2890052 00010103
	s_lshr_b32 s61, s82, 24                                    // 0000000080C0: 8F3D9852
	s_and_b32 s82, s82, 0xffffff                               // 0000000080C4: 8652FF52 00FFFFFF
	s_mul_i32 s82, s82, s71                                    // 0000000080CC: 92524752
	s_mul_i32 s61, s60, s61                                    // 0000000080D0: 923D3D3C
	s_add_u32 s82, s82, s61                                    // 0000000080D4: 80523D52
	v_mul_lo_u32 v6, v5, s82                                   // 0000000080D8: D2850006 0000A505
	v_readlane_b32 s82, v3, 1                                  // 0000000080E0: D2890052 00010303
	s_lshr_b32 s61, s82, 24                                    // 0000000080E8: 8F3D9852
	s_and_b32 s82, s82, 0xffffff                               // 0000000080EC: 8652FF52 00FFFFFF
	s_mul_i32 s82, s82, s71                                    // 0000000080F4: 92524752
	s_mul_i32 s61, s60, s61                                    // 0000000080F8: 923D3D3C
	s_add_u32 s82, s82, s61                                    // 0000000080FC: 80523D52
	v_mul_lo_u32 v7, v4, s82                                   // 000000008100: D2850007 0000A504
	v_add_u32_e32 v50, v6, v7                                  // 000000008108: 68640F06
	v_readlane_b32 s82, v3, 2                                  // 00000000810C: D2890052 00010503
	s_lshr_b32 s61, s82, 24                                    // 000000008114: 8F3D9852
	s_and_b32 s82, s82, 0xffffff                               // 000000008118: 8652FF52 00FFFFFF
	s_mul_i32 s82, s82, s71                                    // 000000008120: 92524752
	s_mul_i32 s61, s60, s61                                    // 000000008124: 923D3D3C
	s_add_u32 s82, s82, s61                                    // 000000008128: 80523D52
	v_mul_lo_u32 v6, v5, s82                                   // 00000000812C: D2850006 0000A505
	v_readlane_b32 s82, v3, 3                                  // 000000008134: D2890052 00010703
	s_lshr_b32 s61, s82, 24                                    // 00000000813C: 8F3D9852
	s_and_b32 s82, s82, 0xffffff                               // 000000008140: 8652FF52 00FFFFFF
	s_mul_i32 s82, s82, s71                                    // 000000008148: 92524752
	s_mul_i32 s61, s60, s61                                    // 00000000814C: 923D3D3C
	s_add_u32 s82, s82, s61                                    // 000000008150: 80523D52
	v_mul_lo_u32 v7, v4, s82                                   // 000000008154: D2850007 0000A504
	v_add_u32_e32 v51, v6, v7                                  // 00000000815C: 68660F06
	v_readlane_b32 s82, v3, 4                                  // 000000008160: D2890052 00010903
	s_lshr_b32 s61, s82, 24                                    // 000000008168: 8F3D9852
	s_and_b32 s82, s82, 0xffffff                               // 00000000816C: 8652FF52 00FFFFFF
	s_mul_i32 s82, s82, s71                                    // 000000008174: 92524752
	s_mul_i32 s61, s60, s61                                    // 000000008178: 923D3D3C
	s_add_u32 s82, s82, s61                                    // 00000000817C: 80523D52
	v_mul_lo_u32 v6, v5, s82                                   // 000000008180: D2850006 0000A505
	v_readlane_b32 s82, v3, 5                                  // 000000008188: D2890052 00010B03
	s_lshr_b32 s61, s82, 24                                    // 000000008190: 8F3D9852
	s_and_b32 s82, s82, 0xffffff                               // 000000008194: 8652FF52 00FFFFFF
	s_mul_i32 s82, s82, s71                                    // 00000000819C: 92524752
	s_mul_i32 s61, s60, s61                                    // 0000000081A0: 923D3D3C
	s_add_u32 s82, s82, s61                                    // 0000000081A4: 80523D52
	v_mul_lo_u32 v7, v4, s82                                   // 0000000081A8: D2850007 0000A504
	v_add_u32_e32 v52, v6, v7                                  // 0000000081B0: 68680F06
	v_readlane_b32 s82, v3, 6                                  // 0000000081B4: D2890052 00010D03
	s_lshr_b32 s61, s82, 24                                    // 0000000081BC: 8F3D9852
	s_and_b32 s82, s82, 0xffffff                               // 0000000081C0: 8652FF52 00FFFFFF
	s_mul_i32 s82, s82, s71                                    // 0000000081C8: 92524752
	s_mul_i32 s61, s60, s61                                    // 0000000081CC: 923D3D3C
	s_add_u32 s82, s82, s61                                    // 0000000081D0: 80523D52
	v_mul_lo_u32 v6, v5, s82                                   // 0000000081D4: D2850006 0000A505
	v_readlane_b32 s82, v3, 7                                  // 0000000081DC: D2890052 00010F03
	s_lshr_b32 s61, s82, 24                                    // 0000000081E4: 8F3D9852
	s_and_b32 s82, s82, 0xffffff                               // 0000000081E8: 8652FF52 00FFFFFF
	s_mul_i32 s82, s82, s71                                    // 0000000081F0: 92524752
	s_mul_i32 s61, s60, s61                                    // 0000000081F4: 923D3D3C
	s_add_u32 s82, s82, s61                                    // 0000000081F8: 80523D52
	v_mul_lo_u32 v7, v4, s82                                   // 0000000081FC: D2850007 0000A504
	v_add_u32_e32 v53, v6, v7                                  // 000000008204: 686A0F06
	v_readlane_b32 s82, v3, 8                                  // 000000008208: D2890052 00011103
	s_lshr_b32 s61, s82, 24                                    // 000000008210: 8F3D9852
	s_and_b32 s82, s82, 0xffffff                               // 000000008214: 8652FF52 00FFFFFF
	s_mul_i32 s82, s82, s71                                    // 00000000821C: 92524752
	s_mul_i32 s61, s60, s61                                    // 000000008220: 923D3D3C
	s_add_u32 s82, s82, s61                                    // 000000008224: 80523D52
	v_mul_lo_u32 v6, v5, s82                                   // 000000008228: D2850006 0000A505
	v_readlane_b32 s82, v3, 9                                  // 000000008230: D2890052 00011303
	s_lshr_b32 s61, s82, 24                                    // 000000008238: 8F3D9852
	s_and_b32 s82, s82, 0xffffff                               // 00000000823C: 8652FF52 00FFFFFF
	s_mul_i32 s82, s82, s71                                    // 000000008244: 92524752
	s_mul_i32 s61, s60, s61                                    // 000000008248: 923D3D3C
	s_add_u32 s82, s82, s61                                    // 00000000824C: 80523D52
	v_mul_lo_u32 v7, v4, s82                                   // 000000008250: D2850007 0000A504
	v_add_u32_e32 v54, v6, v7                                  // 000000008258: 686C0F06
	v_readlane_b32 s82, v3, 10                                 // 00000000825C: D2890052 00011503
	s_lshr_b32 s61, s82, 24                                    // 000000008264: 8F3D9852
	s_and_b32 s82, s82, 0xffffff                               // 000000008268: 8652FF52 00FFFFFF
	s_mul_i32 s82, s82, s71                                    // 000000008270: 92524752
	s_mul_i32 s61, s60, s61                                    // 000000008274: 923D3D3C
	s_add_u32 s82, s82, s61                                    // 000000008278: 80523D52
	v_mul_lo_u32 v6, v5, s82                                   // 00000000827C: D2850006 0000A505
	v_readlane_b32 s82, v3, 11                                 // 000000008284: D2890052 00011703
	s_lshr_b32 s61, s82, 24                                    // 00000000828C: 8F3D9852
	s_and_b32 s82, s82, 0xffffff                               // 000000008290: 8652FF52 00FFFFFF
	s_mul_i32 s82, s82, s71                                    // 000000008298: 92524752
	s_mul_i32 s61, s60, s61                                    // 00000000829C: 923D3D3C
	s_add_u32 s82, s82, s61                                    // 0000000082A0: 80523D52
	v_mul_lo_u32 v7, v4, s82                                   // 0000000082A4: D2850007 0000A504
	v_add_u32_e32 v55, v6, v7                                  // 0000000082AC: 686E0F06
	v_readlane_b32 s82, v3, 12                                 // 0000000082B0: D2890052 00011903
	s_lshr_b32 s61, s82, 24                                    // 0000000082B8: 8F3D9852
	s_and_b32 s82, s82, 0xffffff                               // 0000000082BC: 8652FF52 00FFFFFF
	s_mul_i32 s82, s82, s71                                    // 0000000082C4: 92524752
	s_mul_i32 s61, s60, s61                                    // 0000000082C8: 923D3D3C
	s_add_u32 s82, s82, s61                                    // 0000000082CC: 80523D52
	v_mul_lo_u32 v6, v5, s82                                   // 0000000082D0: D2850006 0000A505
	v_readlane_b32 s82, v3, 13                                 // 0000000082D8: D2890052 00011B03
	s_lshr_b32 s61, s82, 24                                    // 0000000082E0: 8F3D9852
	s_and_b32 s82, s82, 0xffffff                               // 0000000082E4: 8652FF52 00FFFFFF
	s_mul_i32 s82, s82, s71                                    // 0000000082EC: 92524752
	s_mul_i32 s61, s60, s61                                    // 0000000082F0: 923D3D3C
	s_add_u32 s82, s82, s61                                    // 0000000082F4: 80523D52
	v_mul_lo_u32 v7, v4, s82                                   // 0000000082F8: D2850007 0000A504
	v_add_u32_e32 v56, v6, v7                                  // 000000008300: 68700F06
	v_readlane_b32 s82, v3, 14                                 // 000000008304: D2890052 00011D03
	s_lshr_b32 s61, s82, 24                                    // 00000000830C: 8F3D9852
	s_and_b32 s82, s82, 0xffffff                               // 000000008310: 8652FF52 00FFFFFF
	s_mul_i32 s82, s82, s71                                    // 000000008318: 92524752
	s_mul_i32 s61, s60, s61                                    // 00000000831C: 923D3D3C
	s_add_u32 s82, s82, s61                                    // 000000008320: 80523D52
	v_mul_lo_u32 v6, v5, s82                                   // 000000008324: D2850006 0000A505
	v_readlane_b32 s82, v3, 15                                 // 00000000832C: D2890052 00011F03
	s_lshr_b32 s61, s82, 24                                    // 000000008334: 8F3D9852
	s_and_b32 s82, s82, 0xffffff                               // 000000008338: 8652FF52 00FFFFFF
	s_mul_i32 s82, s82, s71                                    // 000000008340: 92524752
	s_mul_i32 s61, s60, s61                                    // 000000008344: 923D3D3C
	s_add_u32 s82, s82, s61                                    // 000000008348: 80523D52
	v_mul_lo_u32 v7, v4, s82                                   // 00000000834C: D2850007 0000A504
	v_add_u32_e32 v57, v6, v7                                  // 000000008354: 68720F06
	v_readlane_b32 s82, v3, 16                                 // 000000008358: D2890052 00012103
	s_lshr_b32 s61, s82, 24                                    // 000000008360: 8F3D9852
	s_and_b32 s82, s82, 0xffffff                               // 000000008364: 8652FF52 00FFFFFF
	s_mul_i32 s82, s82, s71                                    // 00000000836C: 92524752
	s_mul_i32 s61, s60, s61                                    // 000000008370: 923D3D3C
	s_add_u32 s82, s82, s61                                    // 000000008374: 80523D52
	v_mul_lo_u32 v6, v5, s82                                   // 000000008378: D2850006 0000A505
	v_readlane_b32 s82, v3, 17                                 // 000000008380: D2890052 00012303
	s_lshr_b32 s61, s82, 24                                    // 000000008388: 8F3D9852
	s_and_b32 s82, s82, 0xffffff                               // 00000000838C: 8652FF52 00FFFFFF
	s_mul_i32 s82, s82, s71                                    // 000000008394: 92524752
	s_mul_i32 s61, s60, s61                                    // 000000008398: 923D3D3C
	s_add_u32 s82, s82, s61                                    // 00000000839C: 80523D52
	v_mul_lo_u32 v7, v4, s82                                   // 0000000083A0: D2850007 0000A504
	v_add_u32_e32 v58, v6, v7                                  // 0000000083A8: 68740F06
	v_readlane_b32 s82, v3, 18                                 // 0000000083AC: D2890052 00012503
	s_lshr_b32 s61, s82, 24                                    // 0000000083B4: 8F3D9852
	s_and_b32 s82, s82, 0xffffff                               // 0000000083B8: 8652FF52 00FFFFFF
	s_mul_i32 s82, s82, s71                                    // 0000000083C0: 92524752
	s_mul_i32 s61, s60, s61                                    // 0000000083C4: 923D3D3C
	s_add_u32 s82, s82, s61                                    // 0000000083C8: 80523D52
	v_mul_lo_u32 v6, v5, s82                                   // 0000000083CC: D2850006 0000A505
	v_readlane_b32 s82, v3, 19                                 // 0000000083D4: D2890052 00012703
	s_lshr_b32 s61, s82, 24                                    // 0000000083DC: 8F3D9852
	s_and_b32 s82, s82, 0xffffff                               // 0000000083E0: 8652FF52 00FFFFFF
	s_mul_i32 s82, s82, s71                                    // 0000000083E8: 92524752
	s_mul_i32 s61, s60, s61                                    // 0000000083EC: 923D3D3C
	s_add_u32 s82, s82, s61                                    // 0000000083F0: 80523D52
	v_mul_lo_u32 v7, v4, s82                                   // 0000000083F4: D2850007 0000A504
	v_add_u32_e32 v59, v6, v7                                  // 0000000083FC: 68760F06
	v_and_b32_e32 v4, 31, v0                                   // 000000008400: 2608009F
	v_lshrrev_b32_e32 v4, 1, v4                                // 000000008404: 20080881
	s_cmp_eq_u32 s88, 0                                        // 000000008408: BF068058
	s_cselect_b32 s61, 2, 4                                    // 00000000840C: 853D8482
	v_mul_lo_u32 v4, v4, s61                                   // 000000008410: D2850004 00007B04
	v_and_b32_e64 v5, v0, 1                                    // 000000008418: D1130005 00010300
	v_add_u32_e32 v4, v4, v5                                   // 000000008420: 68080B04
	v_lshlrev_b32_e32 v4, 2, v4                                // 000000008424: 24080882
	v_add_u32_e32 v50, v50, v4                                 // 000000008428: 68640932
	v_add_u32_e32 v51, v51, v4                                 // 00000000842C: 68660933
	v_add_u32_e32 v52, v52, v4                                 // 000000008430: 68680934
	v_add_u32_e32 v53, v53, v4                                 // 000000008434: 686A0935
	v_add_u32_e32 v54, v54, v4                                 // 000000008438: 686C0936
	v_add_u32_e32 v55, v55, v4                                 // 00000000843C: 686E0937
	v_add_u32_e32 v56, v56, v4                                 // 000000008440: 68700938
	v_add_u32_e32 v57, v57, v4                                 // 000000008444: 68720939
	v_add_u32_e32 v58, v58, v4                                 // 000000008448: 6874093A
	v_add_u32_e32 v59, v59, v4                                 // 00000000844C: 6876093B
	s_waitcnt lgkmcnt(0)                                       // 000000008450: BF8CC07F
	s_barrier                                                  // 000000008454: BF8A0000
	ds_read_b32 v64, v21                                       // 000000008458: D86C0000 40000015
	ds_read_b32 v65, v21 offset:64                             // 000000008460: D86C0040 41000015
	ds_read_b32 v66, v21 offset:2176                           // 000000008468: D86C0880 42000015
	ds_read_b32 v67, v21 offset:2240                           // 000000008470: D86C08C0 43000015
	ds_read_b32 v68, v21 offset:4352                           // 000000008478: D86C1100 44000015
	ds_read_b32 v69, v21 offset:4416                           // 000000008480: D86C1140 45000015
	ds_read_b32 v70, v21 offset:6528                           // 000000008488: D86C1980 46000015
	ds_read_b32 v71, v21 offset:6592                           // 000000008490: D86C19C0 47000015
	ds_read_b32 v72, v21 offset:8704                           // 000000008498: D86C2200 48000015
	ds_read_b32 v73, v21 offset:8768                           // 0000000084A0: D86C2240 49000015
	s_waitcnt lgkmcnt(0)                                       // 0000000084A8: BF8CC07F
	s_mov_b32 s36, -1                                          // 0000000084AC: BEA400C1
	s_mov_b32 s37, -1                                          // 0000000084B0: BEA500C1
	v_mov_b32_e32 v7, 0                                        // 0000000084B4: 7E0E0280
	s_or_b32 s9, s9, 0x40000                                   // 0000000084B8: 8709FF09 00040000
	s_mov_b64 exec, s[36:37]                                   // 0000000084C0: BEFE0124
	v_mov_b32_e32 v6, v50                                      // 0000000084C4: 7E0C0332
	s_mov_b64 s[60:61], 0                                      // 0000000084C8: BEBC0180
	v_readlane_b32 s82, v3, 0                                  // 0000000084CC: D2890052 00010103
	s_and_b32 s82, s82, 0xffffff                               // 0000000084D4: 8652FF52 00FFFFFF
	s_cmp_lt_u32 s82, s66                                      // 0000000084DC: BF0A4252
	s_cselect_b32 s20, s36, s60                                // 0000000084E0: 85143C24
	v_readlane_b32 s82, v3, 1                                  // 0000000084E4: D2890052 00010303
	s_and_b32 s82, s82, 0xffffff                               // 0000000084EC: 8652FF52 00FFFFFF
	s_cmp_lt_u32 s82, s66                                      // 0000000084F4: BF0A4252
	s_cselect_b32 s21, s36, s60                                // 0000000084F8: 85153C24
	s_mov_b64 exec, s[20:21]                                   // 0000000084FC: BEFE0114
	buffer_store_dword v64, v6, s[8:11], 0 offen               // 000000008500: E0701000 80024006
	s_mov_b64 exec, s[36:37]                                   // 000000008508: BEFE0124
	v_mov_b32_e32 v6, v51                                      // 00000000850C: 7E0C0333
	s_mov_b64 s[60:61], 0                                      // 000000008510: BEBC0180
	v_readlane_b32 s82, v3, 2                                  // 000000008514: D2890052 00010503
	s_and_b32 s82, s82, 0xffffff                               // 00000000851C: 8652FF52 00FFFFFF
	s_cmp_lt_u32 s82, s66                                      // 000000008524: BF0A4252
	s_cselect_b32 s20, s36, s60                                // 000000008528: 85143C24
	v_readlane_b32 s82, v3, 3                                  // 00000000852C: D2890052 00010703
	s_and_b32 s82, s82, 0xffffff                               // 000000008534: 8652FF52 00FFFFFF
	s_cmp_lt_u32 s82, s66                                      // 00000000853C: BF0A4252
	s_cselect_b32 s21, s36, s60                                // 000000008540: 85153C24
	s_mov_b64 exec, s[20:21]                                   // 000000008544: BEFE0114
	buffer_store_dword v65, v6, s[8:11], 0 offen               // 000000008548: E0701000 80024106
	s_mov_b64 exec, s[36:37]                                   // 000000008550: BEFE0124
	v_mov_b32_e32 v6, v52                                      // 000000008554: 7E0C0334
	s_mov_b64 s[60:61], 0                                      // 000000008558: BEBC0180
	v_readlane_b32 s82, v3, 4                                  // 00000000855C: D2890052 00010903
	s_and_b32 s82, s82, 0xffffff                               // 000000008564: 8652FF52 00FFFFFF
	s_cmp_lt_u32 s82, s66                                      // 00000000856C: BF0A4252
	s_cselect_b32 s20, s36, s60                                // 000000008570: 85143C24
	v_readlane_b32 s82, v3, 5                                  // 000000008574: D2890052 00010B03
	s_and_b32 s82, s82, 0xffffff                               // 00000000857C: 8652FF52 00FFFFFF
	s_cmp_lt_u32 s82, s66                                      // 000000008584: BF0A4252
	s_cselect_b32 s21, s36, s60                                // 000000008588: 85153C24
	s_mov_b64 exec, s[20:21]                                   // 00000000858C: BEFE0114
	buffer_store_dword v66, v6, s[8:11], 0 offen               // 000000008590: E0701000 80024206
	s_mov_b64 exec, s[36:37]                                   // 000000008598: BEFE0124
	v_mov_b32_e32 v6, v53                                      // 00000000859C: 7E0C0335
	s_mov_b64 s[60:61], 0                                      // 0000000085A0: BEBC0180
	v_readlane_b32 s82, v3, 6                                  // 0000000085A4: D2890052 00010D03
	s_and_b32 s82, s82, 0xffffff                               // 0000000085AC: 8652FF52 00FFFFFF
	s_cmp_lt_u32 s82, s66                                      // 0000000085B4: BF0A4252
	s_cselect_b32 s20, s36, s60                                // 0000000085B8: 85143C24
	v_readlane_b32 s82, v3, 7                                  // 0000000085BC: D2890052 00010F03
	s_and_b32 s82, s82, 0xffffff                               // 0000000085C4: 8652FF52 00FFFFFF
	s_cmp_lt_u32 s82, s66                                      // 0000000085CC: BF0A4252
	s_cselect_b32 s21, s36, s60                                // 0000000085D0: 85153C24
	s_mov_b64 exec, s[20:21]                                   // 0000000085D4: BEFE0114
	buffer_store_dword v67, v6, s[8:11], 0 offen               // 0000000085D8: E0701000 80024306
	s_mov_b64 exec, s[36:37]                                   // 0000000085E0: BEFE0124
	v_mov_b32_e32 v6, v54                                      // 0000000085E4: 7E0C0336
	s_mov_b64 s[60:61], 0                                      // 0000000085E8: BEBC0180
	v_readlane_b32 s82, v3, 8                                  // 0000000085EC: D2890052 00011103
	s_and_b32 s82, s82, 0xffffff                               // 0000000085F4: 8652FF52 00FFFFFF
	s_cmp_lt_u32 s82, s66                                      // 0000000085FC: BF0A4252
	s_cselect_b32 s20, s36, s60                                // 000000008600: 85143C24
	v_readlane_b32 s82, v3, 9                                  // 000000008604: D2890052 00011303
	s_and_b32 s82, s82, 0xffffff                               // 00000000860C: 8652FF52 00FFFFFF
	s_cmp_lt_u32 s82, s66                                      // 000000008614: BF0A4252
	s_cselect_b32 s21, s36, s60                                // 000000008618: 85153C24
	s_mov_b64 exec, s[20:21]                                   // 00000000861C: BEFE0114
	buffer_store_dword v68, v6, s[8:11], 0 offen               // 000000008620: E0701000 80024406
	s_mov_b64 exec, s[36:37]                                   // 000000008628: BEFE0124
	v_mov_b32_e32 v6, v55                                      // 00000000862C: 7E0C0337
	s_mov_b64 s[60:61], 0                                      // 000000008630: BEBC0180
	v_readlane_b32 s82, v3, 10                                 // 000000008634: D2890052 00011503
	s_and_b32 s82, s82, 0xffffff                               // 00000000863C: 8652FF52 00FFFFFF
	s_cmp_lt_u32 s82, s66                                      // 000000008644: BF0A4252
	s_cselect_b32 s20, s36, s60                                // 000000008648: 85143C24
	v_readlane_b32 s82, v3, 11                                 // 00000000864C: D2890052 00011703
	s_and_b32 s82, s82, 0xffffff                               // 000000008654: 8652FF52 00FFFFFF
	s_cmp_lt_u32 s82, s66                                      // 00000000865C: BF0A4252
	s_cselect_b32 s21, s36, s60                                // 000000008660: 85153C24
	s_mov_b64 exec, s[20:21]                                   // 000000008664: BEFE0114
	buffer_store_dword v69, v6, s[8:11], 0 offen               // 000000008668: E0701000 80024506
	s_mov_b64 exec, s[36:37]                                   // 000000008670: BEFE0124
	v_mov_b32_e32 v6, v56                                      // 000000008674: 7E0C0338
	s_mov_b64 s[60:61], 0                                      // 000000008678: BEBC0180
	v_readlane_b32 s82, v3, 12                                 // 00000000867C: D2890052 00011903
	s_and_b32 s82, s82, 0xffffff                               // 000000008684: 8652FF52 00FFFFFF
	s_cmp_lt_u32 s82, s66                                      // 00000000868C: BF0A4252
	s_cselect_b32 s20, s36, s60                                // 000000008690: 85143C24
	v_readlane_b32 s82, v3, 13                                 // 000000008694: D2890052 00011B03
	s_and_b32 s82, s82, 0xffffff                               // 00000000869C: 8652FF52 00FFFFFF
	s_cmp_lt_u32 s82, s66                                      // 0000000086A4: BF0A4252
	s_cselect_b32 s21, s36, s60                                // 0000000086A8: 85153C24
	s_mov_b64 exec, s[20:21]                                   // 0000000086AC: BEFE0114
	buffer_store_dword v70, v6, s[8:11], 0 offen               // 0000000086B0: E0701000 80024606
	s_mov_b64 exec, s[36:37]                                   // 0000000086B8: BEFE0124
	v_mov_b32_e32 v6, v57                                      // 0000000086BC: 7E0C0339
	s_mov_b64 s[60:61], 0                                      // 0000000086C0: BEBC0180
	v_readlane_b32 s82, v3, 14                                 // 0000000086C4: D2890052 00011D03
	s_and_b32 s82, s82, 0xffffff                               // 0000000086CC: 8652FF52 00FFFFFF
	s_cmp_lt_u32 s82, s66                                      // 0000000086D4: BF0A4252
	s_cselect_b32 s20, s36, s60                                // 0000000086D8: 85143C24
	v_readlane_b32 s82, v3, 15                                 // 0000000086DC: D2890052 00011F03
	s_and_b32 s82, s82, 0xffffff                               // 0000000086E4: 8652FF52 00FFFFFF
	s_cmp_lt_u32 s82, s66                                      // 0000000086EC: BF0A4252
	s_cselect_b32 s21, s36, s60                                // 0000000086F0: 85153C24
	s_mov_b64 exec, s[20:21]                                   // 0000000086F4: BEFE0114
	buffer_store_dword v71, v6, s[8:11], 0 offen               // 0000000086F8: E0701000 80024706
	s_mov_b64 exec, s[36:37]                                   // 000000008700: BEFE0124
	v_mov_b32_e32 v6, v58                                      // 000000008704: 7E0C033A
	s_mov_b64 s[60:61], 0                                      // 000000008708: BEBC0180
	v_readlane_b32 s82, v3, 16                                 // 00000000870C: D2890052 00012103
	s_and_b32 s82, s82, 0xffffff                               // 000000008714: 8652FF52 00FFFFFF
	s_cmp_lt_u32 s82, s66                                      // 00000000871C: BF0A4252
	s_cselect_b32 s20, s36, s60                                // 000000008720: 85143C24
	v_readlane_b32 s82, v3, 17                                 // 000000008724: D2890052 00012303
	s_and_b32 s82, s82, 0xffffff                               // 00000000872C: 8652FF52 00FFFFFF
	s_cmp_lt_u32 s82, s66                                      // 000000008734: BF0A4252
	s_cselect_b32 s21, s36, s60                                // 000000008738: 85153C24
	s_mov_b64 exec, s[20:21]                                   // 00000000873C: BEFE0114
	buffer_store_dword v72, v6, s[8:11], 0 offen               // 000000008740: E0701000 80024806
	s_mov_b64 exec, s[36:37]                                   // 000000008748: BEFE0124
	v_mov_b32_e32 v6, v59                                      // 00000000874C: 7E0C033B
	s_mov_b64 s[60:61], 0                                      // 000000008750: BEBC0180
	v_readlane_b32 s82, v3, 18                                 // 000000008754: D2890052 00012503
	s_and_b32 s82, s82, 0xffffff                               // 00000000875C: 8652FF52 00FFFFFF
	s_cmp_lt_u32 s82, s66                                      // 000000008764: BF0A4252
	s_cselect_b32 s20, s36, s60                                // 000000008768: 85143C24
	v_readlane_b32 s82, v3, 19                                 // 00000000876C: D2890052 00012703
	s_and_b32 s82, s82, 0xffffff                               // 000000008774: 8652FF52 00FFFFFF
	s_cmp_lt_u32 s82, s66                                      // 00000000877C: BF0A4252
	s_cselect_b32 s21, s36, s60                                // 000000008780: 85153C24
	s_mov_b64 exec, s[20:21]                                   // 000000008784: BEFE0114
	buffer_store_dword v73, v6, s[8:11], 0 offen               // 000000008788: E0701000 80024906
	s_mov_b64 exec, s[36:37]                                   // 000000008790: BEFE0124
	s_branch label_1BB7                                        // 000000008794: BF82044E

0000000000008798 <label_1769>:
	ds_write_b64 v20, v[64:65]                                 // 000000008798: D89A0000 00004014
	ds_write_b64 v20, v[68:69] offset:2176                     // 0000000087A0: D89A0880 00004414
	ds_write_b64 v20, v[72:73] offset:4352                     // 0000000087A8: D89A1100 00004814
	ds_write_b64 v20, v[76:77] offset:6528                     // 0000000087B0: D89A1980 00004C14
	ds_write_b64 v20, v[80:81] offset:8704                     // 0000000087B8: D89A2200 00005014
	v_lshrrev_b32_e32 v4, 5, v0                                // 0000000087C0: 20080085
	v_xor_b32_e32 v5, 1, v4                                    // 0000000087C4: 2A0A0881
	s_mul_i32 s60, s65, 2                                      // 0000000087C8: 923C8241
	s_cmp_eq_u32 s88, 0                                        // 0000000087CC: BF068058
	s_cselect_b32 s61, 1, 4                                    // 0000000087D0: 853D8481
	s_mul_i32 s60, s61, s60                                    // 0000000087D4: 923C3C3D
	v_readlane_b32 s82, v3, 0                                  // 0000000087D8: D2890052 00010103
	s_lshr_b32 s61, s82, 24                                    // 0000000087E0: 8F3D9852
	s_and_b32 s82, s82, 0xffffff                               // 0000000087E4: 8652FF52 00FFFFFF
	s_mul_i32 s82, s82, s71                                    // 0000000087EC: 92524752
	s_mul_i32 s61, s60, s61                                    // 0000000087F0: 923D3D3C
	s_add_u32 s82, s82, s61                                    // 0000000087F4: 80523D52
	v_mul_lo_u32 v6, v5, s82                                   // 0000000087F8: D2850006 0000A505
	v_readlane_b32 s82, v3, 1                                  // 000000008800: D2890052 00010303
	s_lshr_b32 s61, s82, 24                                    // 000000008808: 8F3D9852
	s_and_b32 s82, s82, 0xffffff                               // 00000000880C: 8652FF52 00FFFFFF
	s_mul_i32 s82, s82, s71                                    // 000000008814: 92524752
	s_mul_i32 s61, s60, s61                                    // 000000008818: 923D3D3C
	s_add_u32 s82, s82, s61                                    // 00000000881C: 80523D52
	v_mul_lo_u32 v7, v4, s82                                   // 000000008820: D2850007 0000A504
	v_add_u32_e32 v50, v6, v7                                  // 000000008828: 68640F06
	v_readlane_b32 s82, v3, 2                                  // 00000000882C: D2890052 00010503
	s_lshr_b32 s61, s82, 24                                    // 000000008834: 8F3D9852
	s_and_b32 s82, s82, 0xffffff                               // 000000008838: 8652FF52 00FFFFFF
	s_mul_i32 s82, s82, s71                                    // 000000008840: 92524752
	s_mul_i32 s61, s60, s61                                    // 000000008844: 923D3D3C
	s_add_u32 s82, s82, s61                                    // 000000008848: 80523D52
	v_mul_lo_u32 v6, v5, s82                                   // 00000000884C: D2850006 0000A505
	v_readlane_b32 s82, v3, 3                                  // 000000008854: D2890052 00010703
	s_lshr_b32 s61, s82, 24                                    // 00000000885C: 8F3D9852
	s_and_b32 s82, s82, 0xffffff                               // 000000008860: 8652FF52 00FFFFFF
	s_mul_i32 s82, s82, s71                                    // 000000008868: 92524752
	s_mul_i32 s61, s60, s61                                    // 00000000886C: 923D3D3C
	s_add_u32 s82, s82, s61                                    // 000000008870: 80523D52
	v_mul_lo_u32 v7, v4, s82                                   // 000000008874: D2850007 0000A504
	v_add_u32_e32 v51, v6, v7                                  // 00000000887C: 68660F06
	v_readlane_b32 s82, v3, 4                                  // 000000008880: D2890052 00010903
	s_lshr_b32 s61, s82, 24                                    // 000000008888: 8F3D9852
	s_and_b32 s82, s82, 0xffffff                               // 00000000888C: 8652FF52 00FFFFFF
	s_mul_i32 s82, s82, s71                                    // 000000008894: 92524752
	s_mul_i32 s61, s60, s61                                    // 000000008898: 923D3D3C
	s_add_u32 s82, s82, s61                                    // 00000000889C: 80523D52
	v_mul_lo_u32 v6, v5, s82                                   // 0000000088A0: D2850006 0000A505
	v_readlane_b32 s82, v3, 5                                  // 0000000088A8: D2890052 00010B03
	s_lshr_b32 s61, s82, 24                                    // 0000000088B0: 8F3D9852
	s_and_b32 s82, s82, 0xffffff                               // 0000000088B4: 8652FF52 00FFFFFF
	s_mul_i32 s82, s82, s71                                    // 0000000088BC: 92524752
	s_mul_i32 s61, s60, s61                                    // 0000000088C0: 923D3D3C
	s_add_u32 s82, s82, s61                                    // 0000000088C4: 80523D52
	v_mul_lo_u32 v7, v4, s82                                   // 0000000088C8: D2850007 0000A504
	v_add_u32_e32 v52, v6, v7                                  // 0000000088D0: 68680F06
	v_readlane_b32 s82, v3, 6                                  // 0000000088D4: D2890052 00010D03
	s_lshr_b32 s61, s82, 24                                    // 0000000088DC: 8F3D9852
	s_and_b32 s82, s82, 0xffffff                               // 0000000088E0: 8652FF52 00FFFFFF
	s_mul_i32 s82, s82, s71                                    // 0000000088E8: 92524752
	s_mul_i32 s61, s60, s61                                    // 0000000088EC: 923D3D3C
	s_add_u32 s82, s82, s61                                    // 0000000088F0: 80523D52
	v_mul_lo_u32 v6, v5, s82                                   // 0000000088F4: D2850006 0000A505
	v_readlane_b32 s82, v3, 7                                  // 0000000088FC: D2890052 00010F03
	s_lshr_b32 s61, s82, 24                                    // 000000008904: 8F3D9852
	s_and_b32 s82, s82, 0xffffff                               // 000000008908: 8652FF52 00FFFFFF
	s_mul_i32 s82, s82, s71                                    // 000000008910: 92524752
	s_mul_i32 s61, s60, s61                                    // 000000008914: 923D3D3C
	s_add_u32 s82, s82, s61                                    // 000000008918: 80523D52
	v_mul_lo_u32 v7, v4, s82                                   // 00000000891C: D2850007 0000A504
	v_add_u32_e32 v53, v6, v7                                  // 000000008924: 686A0F06
	v_readlane_b32 s82, v3, 8                                  // 000000008928: D2890052 00011103
	s_lshr_b32 s61, s82, 24                                    // 000000008930: 8F3D9852
	s_and_b32 s82, s82, 0xffffff                               // 000000008934: 8652FF52 00FFFFFF
	s_mul_i32 s82, s82, s71                                    // 00000000893C: 92524752
	s_mul_i32 s61, s60, s61                                    // 000000008940: 923D3D3C
	s_add_u32 s82, s82, s61                                    // 000000008944: 80523D52
	v_mul_lo_u32 v6, v5, s82                                   // 000000008948: D2850006 0000A505
	v_readlane_b32 s82, v3, 9                                  // 000000008950: D2890052 00011303
	s_lshr_b32 s61, s82, 24                                    // 000000008958: 8F3D9852
	s_and_b32 s82, s82, 0xffffff                               // 00000000895C: 8652FF52 00FFFFFF
	s_mul_i32 s82, s82, s71                                    // 000000008964: 92524752
	s_mul_i32 s61, s60, s61                                    // 000000008968: 923D3D3C
	s_add_u32 s82, s82, s61                                    // 00000000896C: 80523D52
	v_mul_lo_u32 v7, v4, s82                                   // 000000008970: D2850007 0000A504
	v_add_u32_e32 v54, v6, v7                                  // 000000008978: 686C0F06
	v_readlane_b32 s82, v3, 10                                 // 00000000897C: D2890052 00011503
	s_lshr_b32 s61, s82, 24                                    // 000000008984: 8F3D9852
	s_and_b32 s82, s82, 0xffffff                               // 000000008988: 8652FF52 00FFFFFF
	s_mul_i32 s82, s82, s71                                    // 000000008990: 92524752
	s_mul_i32 s61, s60, s61                                    // 000000008994: 923D3D3C
	s_add_u32 s82, s82, s61                                    // 000000008998: 80523D52
	v_mul_lo_u32 v6, v5, s82                                   // 00000000899C: D2850006 0000A505
	v_readlane_b32 s82, v3, 11                                 // 0000000089A4: D2890052 00011703
	s_lshr_b32 s61, s82, 24                                    // 0000000089AC: 8F3D9852
	s_and_b32 s82, s82, 0xffffff                               // 0000000089B0: 8652FF52 00FFFFFF
	s_mul_i32 s82, s82, s71                                    // 0000000089B8: 92524752
	s_mul_i32 s61, s60, s61                                    // 0000000089BC: 923D3D3C
	s_add_u32 s82, s82, s61                                    // 0000000089C0: 80523D52
	v_mul_lo_u32 v7, v4, s82                                   // 0000000089C4: D2850007 0000A504
	v_add_u32_e32 v55, v6, v7                                  // 0000000089CC: 686E0F06
	v_readlane_b32 s82, v3, 12                                 // 0000000089D0: D2890052 00011903
	s_lshr_b32 s61, s82, 24                                    // 0000000089D8: 8F3D9852
	s_and_b32 s82, s82, 0xffffff                               // 0000000089DC: 8652FF52 00FFFFFF
	s_mul_i32 s82, s82, s71                                    // 0000000089E4: 92524752
	s_mul_i32 s61, s60, s61                                    // 0000000089E8: 923D3D3C
	s_add_u32 s82, s82, s61                                    // 0000000089EC: 80523D52
	v_mul_lo_u32 v6, v5, s82                                   // 0000000089F0: D2850006 0000A505
	v_readlane_b32 s82, v3, 13                                 // 0000000089F8: D2890052 00011B03
	s_lshr_b32 s61, s82, 24                                    // 000000008A00: 8F3D9852
	s_and_b32 s82, s82, 0xffffff                               // 000000008A04: 8652FF52 00FFFFFF
	s_mul_i32 s82, s82, s71                                    // 000000008A0C: 92524752
	s_mul_i32 s61, s60, s61                                    // 000000008A10: 923D3D3C
	s_add_u32 s82, s82, s61                                    // 000000008A14: 80523D52
	v_mul_lo_u32 v7, v4, s82                                   // 000000008A18: D2850007 0000A504
	v_add_u32_e32 v56, v6, v7                                  // 000000008A20: 68700F06
	v_readlane_b32 s82, v3, 14                                 // 000000008A24: D2890052 00011D03
	s_lshr_b32 s61, s82, 24                                    // 000000008A2C: 8F3D9852
	s_and_b32 s82, s82, 0xffffff                               // 000000008A30: 8652FF52 00FFFFFF
	s_mul_i32 s82, s82, s71                                    // 000000008A38: 92524752
	s_mul_i32 s61, s60, s61                                    // 000000008A3C: 923D3D3C
	s_add_u32 s82, s82, s61                                    // 000000008A40: 80523D52
	v_mul_lo_u32 v6, v5, s82                                   // 000000008A44: D2850006 0000A505
	v_readlane_b32 s82, v3, 15                                 // 000000008A4C: D2890052 00011F03
	s_lshr_b32 s61, s82, 24                                    // 000000008A54: 8F3D9852
	s_and_b32 s82, s82, 0xffffff                               // 000000008A58: 8652FF52 00FFFFFF
	s_mul_i32 s82, s82, s71                                    // 000000008A60: 92524752
	s_mul_i32 s61, s60, s61                                    // 000000008A64: 923D3D3C
	s_add_u32 s82, s82, s61                                    // 000000008A68: 80523D52
	v_mul_lo_u32 v7, v4, s82                                   // 000000008A6C: D2850007 0000A504
	v_add_u32_e32 v57, v6, v7                                  // 000000008A74: 68720F06
	v_readlane_b32 s82, v3, 16                                 // 000000008A78: D2890052 00012103
	s_lshr_b32 s61, s82, 24                                    // 000000008A80: 8F3D9852
	s_and_b32 s82, s82, 0xffffff                               // 000000008A84: 8652FF52 00FFFFFF
	s_mul_i32 s82, s82, s71                                    // 000000008A8C: 92524752
	s_mul_i32 s61, s60, s61                                    // 000000008A90: 923D3D3C
	s_add_u32 s82, s82, s61                                    // 000000008A94: 80523D52
	v_mul_lo_u32 v6, v5, s82                                   // 000000008A98: D2850006 0000A505
	v_readlane_b32 s82, v3, 17                                 // 000000008AA0: D2890052 00012303
	s_lshr_b32 s61, s82, 24                                    // 000000008AA8: 8F3D9852
	s_and_b32 s82, s82, 0xffffff                               // 000000008AAC: 8652FF52 00FFFFFF
	s_mul_i32 s82, s82, s71                                    // 000000008AB4: 92524752
	s_mul_i32 s61, s60, s61                                    // 000000008AB8: 923D3D3C
	s_add_u32 s82, s82, s61                                    // 000000008ABC: 80523D52
	v_mul_lo_u32 v7, v4, s82                                   // 000000008AC0: D2850007 0000A504
	v_add_u32_e32 v58, v6, v7                                  // 000000008AC8: 68740F06
	v_readlane_b32 s82, v3, 18                                 // 000000008ACC: D2890052 00012503
	s_lshr_b32 s61, s82, 24                                    // 000000008AD4: 8F3D9852
	s_and_b32 s82, s82, 0xffffff                               // 000000008AD8: 8652FF52 00FFFFFF
	s_mul_i32 s82, s82, s71                                    // 000000008AE0: 92524752
	s_mul_i32 s61, s60, s61                                    // 000000008AE4: 923D3D3C
	s_add_u32 s82, s82, s61                                    // 000000008AE8: 80523D52
	v_mul_lo_u32 v6, v5, s82                                   // 000000008AEC: D2850006 0000A505
	v_readlane_b32 s82, v3, 19                                 // 000000008AF4: D2890052 00012703
	s_lshr_b32 s61, s82, 24                                    // 000000008AFC: 8F3D9852
	s_and_b32 s82, s82, 0xffffff                               // 000000008B00: 8652FF52 00FFFFFF
	s_mul_i32 s82, s82, s71                                    // 000000008B08: 92524752
	s_mul_i32 s61, s60, s61                                    // 000000008B0C: 923D3D3C
	s_add_u32 s82, s82, s61                                    // 000000008B10: 80523D52
	v_mul_lo_u32 v7, v4, s82                                   // 000000008B14: D2850007 0000A504
	v_add_u32_e32 v59, v6, v7                                  // 000000008B1C: 68760F06
	v_and_b32_e32 v4, 31, v0                                   // 000000008B20: 2608009F
	v_lshrrev_b32_e32 v4, 1, v4                                // 000000008B24: 20080881
	s_cmp_eq_u32 s88, 0                                        // 000000008B28: BF068058
	s_cselect_b32 s61, 2, 4                                    // 000000008B2C: 853D8482
	v_mul_lo_u32 v4, v4, s61                                   // 000000008B30: D2850004 00007B04
	v_and_b32_e64 v5, v0, 1                                    // 000000008B38: D1130005 00010300
	v_add_u32_e32 v4, v4, v5                                   // 000000008B40: 68080B04
	v_lshlrev_b32_e32 v4, 2, v4                                // 000000008B44: 24080882
	v_add_u32_e32 v50, v50, v4                                 // 000000008B48: 68640932
	v_add_u32_e32 v51, v51, v4                                 // 000000008B4C: 68660933
	v_add_u32_e32 v52, v52, v4                                 // 000000008B50: 68680934
	v_add_u32_e32 v53, v53, v4                                 // 000000008B54: 686A0935
	v_add_u32_e32 v54, v54, v4                                 // 000000008B58: 686C0936
	v_add_u32_e32 v55, v55, v4                                 // 000000008B5C: 686E0937
	v_add_u32_e32 v56, v56, v4                                 // 000000008B60: 68700938
	v_add_u32_e32 v57, v57, v4                                 // 000000008B64: 68720939
	v_add_u32_e32 v58, v58, v4                                 // 000000008B68: 6874093A
	v_add_u32_e32 v59, v59, v4                                 // 000000008B6C: 6876093B
	s_waitcnt lgkmcnt(0)                                       // 000000008B70: BF8CC07F
	s_barrier                                                  // 000000008B74: BF8A0000
	ds_read_b32 v64, v21                                       // 000000008B78: D86C0000 40000015
	ds_read_b32 v65, v21 offset:64                             // 000000008B80: D86C0040 41000015
	ds_read_b32 v68, v21 offset:2176                           // 000000008B88: D86C0880 44000015
	ds_read_b32 v69, v21 offset:2240                           // 000000008B90: D86C08C0 45000015
	ds_read_b32 v72, v21 offset:4352                           // 000000008B98: D86C1100 48000015
	ds_read_b32 v73, v21 offset:4416                           // 000000008BA0: D86C1140 49000015
	ds_read_b32 v76, v21 offset:6528                           // 000000008BA8: D86C1980 4C000015
	ds_read_b32 v77, v21 offset:6592                           // 000000008BB0: D86C19C0 4D000015
	ds_read_b32 v80, v21 offset:8704                           // 000000008BB8: D86C2200 50000015
	ds_read_b32 v81, v21 offset:8768                           // 000000008BC0: D86C2240 51000015
	s_waitcnt lgkmcnt(0)                                       // 000000008BC8: BF8CC07F
	s_mov_b32 s36, -1                                          // 000000008BCC: BEA400C1
	s_mov_b32 s37, -1                                          // 000000008BD0: BEA500C1
	v_mov_b32_e32 v7, 0                                        // 000000008BD4: 7E0E0280
	s_mov_b64 exec, s[36:37]                                   // 000000008BD8: BEFE0124
	v_mov_b32_e32 v6, v50                                      // 000000008BDC: 7E0C0332
	s_mov_b64 s[60:61], 0                                      // 000000008BE0: BEBC0180
	v_readlane_b32 s82, v3, 0                                  // 000000008BE4: D2890052 00010103
	s_and_b32 s82, s82, 0xffffff                               // 000000008BEC: 8652FF52 00FFFFFF
	s_cmp_lt_u32 s82, s66                                      // 000000008BF4: BF0A4252
	s_cselect_b32 s20, s36, s60                                // 000000008BF8: 85143C24
	v_readlane_b32 s82, v3, 1                                  // 000000008BFC: D2890052 00010303
	s_and_b32 s82, s82, 0xffffff                               // 000000008C04: 8652FF52 00FFFFFF
	s_cmp_lt_u32 s82, s66                                      // 000000008C0C: BF0A4252
	s_cselect_b32 s21, s36, s60                                // 000000008C10: 85153C24
	s_mov_b64 exec, s[20:21]                                   // 000000008C14: BEFE0114
	global_atomic_add_f32 v6, v64, s[8:9]                      // 000000008C18: DD348000 00084006
	s_mov_b64 exec, s[36:37]                                   // 000000008C20: BEFE0124
	v_mov_b32_e32 v6, v51                                      // 000000008C24: 7E0C0333
	s_mov_b64 s[60:61], 0                                      // 000000008C28: BEBC0180
	v_readlane_b32 s82, v3, 2                                  // 000000008C2C: D2890052 00010503
	s_and_b32 s82, s82, 0xffffff                               // 000000008C34: 8652FF52 00FFFFFF
	s_cmp_lt_u32 s82, s66                                      // 000000008C3C: BF0A4252
	s_cselect_b32 s20, s36, s60                                // 000000008C40: 85143C24
	v_readlane_b32 s82, v3, 3                                  // 000000008C44: D2890052 00010703
	s_and_b32 s82, s82, 0xffffff                               // 000000008C4C: 8652FF52 00FFFFFF
	s_cmp_lt_u32 s82, s66                                      // 000000008C54: BF0A4252
	s_cselect_b32 s21, s36, s60                                // 000000008C58: 85153C24
	s_mov_b64 exec, s[20:21]                                   // 000000008C5C: BEFE0114
	global_atomic_add_f32 v6, v65, s[8:9]                      // 000000008C60: DD348000 00084106
	s_mov_b64 exec, s[36:37]                                   // 000000008C68: BEFE0124
	v_mov_b32_e32 v6, v52                                      // 000000008C6C: 7E0C0334
	s_mov_b64 s[60:61], 0                                      // 000000008C70: BEBC0180
	v_readlane_b32 s82, v3, 4                                  // 000000008C74: D2890052 00010903
	s_and_b32 s82, s82, 0xffffff                               // 000000008C7C: 8652FF52 00FFFFFF
	s_cmp_lt_u32 s82, s66                                      // 000000008C84: BF0A4252
	s_cselect_b32 s20, s36, s60                                // 000000008C88: 85143C24
	v_readlane_b32 s82, v3, 5                                  // 000000008C8C: D2890052 00010B03
	s_and_b32 s82, s82, 0xffffff                               // 000000008C94: 8652FF52 00FFFFFF
	s_cmp_lt_u32 s82, s66                                      // 000000008C9C: BF0A4252
	s_cselect_b32 s21, s36, s60                                // 000000008CA0: 85153C24
	s_mov_b64 exec, s[20:21]                                   // 000000008CA4: BEFE0114
	global_atomic_add_f32 v6, v68, s[8:9]                      // 000000008CA8: DD348000 00084406
	s_mov_b64 exec, s[36:37]                                   // 000000008CB0: BEFE0124
	v_mov_b32_e32 v6, v53                                      // 000000008CB4: 7E0C0335
	s_mov_b64 s[60:61], 0                                      // 000000008CB8: BEBC0180
	v_readlane_b32 s82, v3, 6                                  // 000000008CBC: D2890052 00010D03
	s_and_b32 s82, s82, 0xffffff                               // 000000008CC4: 8652FF52 00FFFFFF
	s_cmp_lt_u32 s82, s66                                      // 000000008CCC: BF0A4252
	s_cselect_b32 s20, s36, s60                                // 000000008CD0: 85143C24
	v_readlane_b32 s82, v3, 7                                  // 000000008CD4: D2890052 00010F03
	s_and_b32 s82, s82, 0xffffff                               // 000000008CDC: 8652FF52 00FFFFFF
	s_cmp_lt_u32 s82, s66                                      // 000000008CE4: BF0A4252
	s_cselect_b32 s21, s36, s60                                // 000000008CE8: 85153C24
	s_mov_b64 exec, s[20:21]                                   // 000000008CEC: BEFE0114
	global_atomic_add_f32 v6, v69, s[8:9]                      // 000000008CF0: DD348000 00084506
	s_mov_b64 exec, s[36:37]                                   // 000000008CF8: BEFE0124
	v_mov_b32_e32 v6, v54                                      // 000000008CFC: 7E0C0336
	s_mov_b64 s[60:61], 0                                      // 000000008D00: BEBC0180
	v_readlane_b32 s82, v3, 8                                  // 000000008D04: D2890052 00011103
	s_and_b32 s82, s82, 0xffffff                               // 000000008D0C: 8652FF52 00FFFFFF
	s_cmp_lt_u32 s82, s66                                      // 000000008D14: BF0A4252
	s_cselect_b32 s20, s36, s60                                // 000000008D18: 85143C24
	v_readlane_b32 s82, v3, 9                                  // 000000008D1C: D2890052 00011303
	s_and_b32 s82, s82, 0xffffff                               // 000000008D24: 8652FF52 00FFFFFF
	s_cmp_lt_u32 s82, s66                                      // 000000008D2C: BF0A4252
	s_cselect_b32 s21, s36, s60                                // 000000008D30: 85153C24
	s_mov_b64 exec, s[20:21]                                   // 000000008D34: BEFE0114
	global_atomic_add_f32 v6, v72, s[8:9]                      // 000000008D38: DD348000 00084806
	s_mov_b64 exec, s[36:37]                                   // 000000008D40: BEFE0124
	v_mov_b32_e32 v6, v55                                      // 000000008D44: 7E0C0337
	s_mov_b64 s[60:61], 0                                      // 000000008D48: BEBC0180
	v_readlane_b32 s82, v3, 10                                 // 000000008D4C: D2890052 00011503
	s_and_b32 s82, s82, 0xffffff                               // 000000008D54: 8652FF52 00FFFFFF
	s_cmp_lt_u32 s82, s66                                      // 000000008D5C: BF0A4252
	s_cselect_b32 s20, s36, s60                                // 000000008D60: 85143C24
	v_readlane_b32 s82, v3, 11                                 // 000000008D64: D2890052 00011703
	s_and_b32 s82, s82, 0xffffff                               // 000000008D6C: 8652FF52 00FFFFFF
	s_cmp_lt_u32 s82, s66                                      // 000000008D74: BF0A4252
	s_cselect_b32 s21, s36, s60                                // 000000008D78: 85153C24
	s_mov_b64 exec, s[20:21]                                   // 000000008D7C: BEFE0114
	global_atomic_add_f32 v6, v73, s[8:9]                      // 000000008D80: DD348000 00084906
	s_mov_b64 exec, s[36:37]                                   // 000000008D88: BEFE0124
	v_mov_b32_e32 v6, v56                                      // 000000008D8C: 7E0C0338
	s_mov_b64 s[60:61], 0                                      // 000000008D90: BEBC0180
	v_readlane_b32 s82, v3, 12                                 // 000000008D94: D2890052 00011903
	s_and_b32 s82, s82, 0xffffff                               // 000000008D9C: 8652FF52 00FFFFFF
	s_cmp_lt_u32 s82, s66                                      // 000000008DA4: BF0A4252
	s_cselect_b32 s20, s36, s60                                // 000000008DA8: 85143C24
	v_readlane_b32 s82, v3, 13                                 // 000000008DAC: D2890052 00011B03
	s_and_b32 s82, s82, 0xffffff                               // 000000008DB4: 8652FF52 00FFFFFF
	s_cmp_lt_u32 s82, s66                                      // 000000008DBC: BF0A4252
	s_cselect_b32 s21, s36, s60                                // 000000008DC0: 85153C24
	s_mov_b64 exec, s[20:21]                                   // 000000008DC4: BEFE0114
	global_atomic_add_f32 v6, v76, s[8:9]                      // 000000008DC8: DD348000 00084C06
	s_mov_b64 exec, s[36:37]                                   // 000000008DD0: BEFE0124
	v_mov_b32_e32 v6, v57                                      // 000000008DD4: 7E0C0339
	s_mov_b64 s[60:61], 0                                      // 000000008DD8: BEBC0180
	v_readlane_b32 s82, v3, 14                                 // 000000008DDC: D2890052 00011D03
	s_and_b32 s82, s82, 0xffffff                               // 000000008DE4: 8652FF52 00FFFFFF
	s_cmp_lt_u32 s82, s66                                      // 000000008DEC: BF0A4252
	s_cselect_b32 s20, s36, s60                                // 000000008DF0: 85143C24
	v_readlane_b32 s82, v3, 15                                 // 000000008DF4: D2890052 00011F03
	s_and_b32 s82, s82, 0xffffff                               // 000000008DFC: 8652FF52 00FFFFFF
	s_cmp_lt_u32 s82, s66                                      // 000000008E04: BF0A4252
	s_cselect_b32 s21, s36, s60                                // 000000008E08: 85153C24
	s_mov_b64 exec, s[20:21]                                   // 000000008E0C: BEFE0114
	global_atomic_add_f32 v6, v77, s[8:9]                      // 000000008E10: DD348000 00084D06
	s_mov_b64 exec, s[36:37]                                   // 000000008E18: BEFE0124
	v_mov_b32_e32 v6, v58                                      // 000000008E1C: 7E0C033A
	s_mov_b64 s[60:61], 0                                      // 000000008E20: BEBC0180
	v_readlane_b32 s82, v3, 16                                 // 000000008E24: D2890052 00012103
	s_and_b32 s82, s82, 0xffffff                               // 000000008E2C: 8652FF52 00FFFFFF
	s_cmp_lt_u32 s82, s66                                      // 000000008E34: BF0A4252
	s_cselect_b32 s20, s36, s60                                // 000000008E38: 85143C24
	v_readlane_b32 s82, v3, 17                                 // 000000008E3C: D2890052 00012303
	s_and_b32 s82, s82, 0xffffff                               // 000000008E44: 8652FF52 00FFFFFF
	s_cmp_lt_u32 s82, s66                                      // 000000008E4C: BF0A4252
	s_cselect_b32 s21, s36, s60                                // 000000008E50: 85153C24
	s_mov_b64 exec, s[20:21]                                   // 000000008E54: BEFE0114
	global_atomic_add_f32 v6, v80, s[8:9]                      // 000000008E58: DD348000 00085006
	s_mov_b64 exec, s[36:37]                                   // 000000008E60: BEFE0124
	v_mov_b32_e32 v6, v59                                      // 000000008E64: 7E0C033B
	s_mov_b64 s[60:61], 0                                      // 000000008E68: BEBC0180
	v_readlane_b32 s82, v3, 18                                 // 000000008E6C: D2890052 00012503
	s_and_b32 s82, s82, 0xffffff                               // 000000008E74: 8652FF52 00FFFFFF
	s_cmp_lt_u32 s82, s66                                      // 000000008E7C: BF0A4252
	s_cselect_b32 s20, s36, s60                                // 000000008E80: 85143C24
	v_readlane_b32 s82, v3, 19                                 // 000000008E84: D2890052 00012703
	s_and_b32 s82, s82, 0xffffff                               // 000000008E8C: 8652FF52 00FFFFFF
	s_cmp_lt_u32 s82, s66                                      // 000000008E94: BF0A4252
	s_cselect_b32 s21, s36, s60                                // 000000008E98: 85153C24
	s_mov_b64 exec, s[20:21]                                   // 000000008E9C: BEFE0114
	global_atomic_add_f32 v6, v81, s[8:9]                      // 000000008EA0: DD348000 00085106
	s_mov_b64 exec, s[36:37]                                   // 000000008EA8: BEFE0124
	ds_write_b64 v20, v[66:67]                                 // 000000008EAC: D89A0000 00004214
	ds_write_b64 v20, v[70:71] offset:2176                     // 000000008EB4: D89A0880 00004614
	ds_write_b64 v20, v[74:75] offset:4352                     // 000000008EBC: D89A1100 00004A14
	ds_write_b64 v20, v[78:79] offset:6528                     // 000000008EC4: D89A1980 00004E14
	ds_write_b64 v20, v[82:83] offset:8704                     // 000000008ECC: D89A2200 00005214
	s_waitcnt lgkmcnt(0)                                       // 000000008ED4: BF8CC07F
	s_barrier                                                  // 000000008ED8: BF8A0000
	ds_read_b32 v66, v21                                       // 000000008EDC: D86C0000 42000015
	ds_read_b32 v67, v21 offset:64                             // 000000008EE4: D86C0040 43000015
	ds_read_b32 v70, v21 offset:2176                           // 000000008EEC: D86C0880 46000015
	ds_read_b32 v71, v21 offset:2240                           // 000000008EF4: D86C08C0 47000015
	ds_read_b32 v74, v21 offset:4352                           // 000000008EFC: D86C1100 4A000015
	ds_read_b32 v75, v21 offset:4416                           // 000000008F04: D86C1140 4B000015
	ds_read_b32 v78, v21 offset:6528                           // 000000008F0C: D86C1980 4E000015
	ds_read_b32 v79, v21 offset:6592                           // 000000008F14: D86C19C0 4F000015
	ds_read_b32 v82, v21 offset:8704                           // 000000008F1C: D86C2200 52000015
	ds_read_b32 v83, v21 offset:8768                           // 000000008F24: D86C2240 53000015
	s_waitcnt lgkmcnt(0)                                       // 000000008F2C: BF8CC07F
	v_mov_b32_e32 v7, 0                                        // 000000008F30: 7E0E0280
	s_mov_b64 exec, s[36:37]                                   // 000000008F34: BEFE0124
	v_mov_b32_e32 v6, v50                                      // 000000008F38: 7E0C0332
	s_mov_b64 s[60:61], 0                                      // 000000008F3C: BEBC0180
	v_readlane_b32 s82, v3, 0                                  // 000000008F40: D2890052 00010103
	s_and_b32 s82, s82, 0xffffff                               // 000000008F48: 8652FF52 00FFFFFF
	s_cmp_lt_u32 s82, s66                                      // 000000008F50: BF0A4252
	s_cselect_b32 s20, s36, s60                                // 000000008F54: 85143C24
	v_readlane_b32 s82, v3, 1                                  // 000000008F58: D2890052 00010303
	s_and_b32 s82, s82, 0xffffff                               // 000000008F60: 8652FF52 00FFFFFF
	s_cmp_lt_u32 s82, s66                                      // 000000008F68: BF0A4252
	s_cselect_b32 s21, s36, s60                                // 000000008F6C: 85153C24
	s_mov_b64 exec, s[20:21]                                   // 000000008F70: BEFE0114
	global_atomic_add_f32 v6, v66, s[8:9] offset:8             // 000000008F74: DD348008 00084206
	s_mov_b64 exec, s[36:37]                                   // 000000008F7C: BEFE0124
	v_mov_b32_e32 v6, v51                                      // 000000008F80: 7E0C0333
	s_mov_b64 s[60:61], 0                                      // 000000008F84: BEBC0180
	v_readlane_b32 s82, v3, 2                                  // 000000008F88: D2890052 00010503
	s_and_b32 s82, s82, 0xffffff                               // 000000008F90: 8652FF52 00FFFFFF
	s_cmp_lt_u32 s82, s66                                      // 000000008F98: BF0A4252
	s_cselect_b32 s20, s36, s60                                // 000000008F9C: 85143C24
	v_readlane_b32 s82, v3, 3                                  // 000000008FA0: D2890052 00010703
	s_and_b32 s82, s82, 0xffffff                               // 000000008FA8: 8652FF52 00FFFFFF
	s_cmp_lt_u32 s82, s66                                      // 000000008FB0: BF0A4252
	s_cselect_b32 s21, s36, s60                                // 000000008FB4: 85153C24
	s_mov_b64 exec, s[20:21]                                   // 000000008FB8: BEFE0114
	global_atomic_add_f32 v6, v67, s[8:9] offset:8             // 000000008FBC: DD348008 00084306
	s_mov_b64 exec, s[36:37]                                   // 000000008FC4: BEFE0124
	v_mov_b32_e32 v6, v52                                      // 000000008FC8: 7E0C0334
	s_mov_b64 s[60:61], 0                                      // 000000008FCC: BEBC0180
	v_readlane_b32 s82, v3, 4                                  // 000000008FD0: D2890052 00010903
	s_and_b32 s82, s82, 0xffffff                               // 000000008FD8: 8652FF52 00FFFFFF
	s_cmp_lt_u32 s82, s66                                      // 000000008FE0: BF0A4252
	s_cselect_b32 s20, s36, s60                                // 000000008FE4: 85143C24
	v_readlane_b32 s82, v3, 5                                  // 000000008FE8: D2890052 00010B03
	s_and_b32 s82, s82, 0xffffff                               // 000000008FF0: 8652FF52 00FFFFFF
	s_cmp_lt_u32 s82, s66                                      // 000000008FF8: BF0A4252
	s_cselect_b32 s21, s36, s60                                // 000000008FFC: 85153C24
	s_mov_b64 exec, s[20:21]                                   // 000000009000: BEFE0114
	global_atomic_add_f32 v6, v70, s[8:9] offset:8             // 000000009004: DD348008 00084606
	s_mov_b64 exec, s[36:37]                                   // 00000000900C: BEFE0124
	v_mov_b32_e32 v6, v53                                      // 000000009010: 7E0C0335
	s_mov_b64 s[60:61], 0                                      // 000000009014: BEBC0180
	v_readlane_b32 s82, v3, 6                                  // 000000009018: D2890052 00010D03
	s_and_b32 s82, s82, 0xffffff                               // 000000009020: 8652FF52 00FFFFFF
	s_cmp_lt_u32 s82, s66                                      // 000000009028: BF0A4252
	s_cselect_b32 s20, s36, s60                                // 00000000902C: 85143C24
	v_readlane_b32 s82, v3, 7                                  // 000000009030: D2890052 00010F03
	s_and_b32 s82, s82, 0xffffff                               // 000000009038: 8652FF52 00FFFFFF
	s_cmp_lt_u32 s82, s66                                      // 000000009040: BF0A4252
	s_cselect_b32 s21, s36, s60                                // 000000009044: 85153C24
	s_mov_b64 exec, s[20:21]                                   // 000000009048: BEFE0114
	global_atomic_add_f32 v6, v71, s[8:9] offset:8             // 00000000904C: DD348008 00084706
	s_mov_b64 exec, s[36:37]                                   // 000000009054: BEFE0124
	v_mov_b32_e32 v6, v54                                      // 000000009058: 7E0C0336
	s_mov_b64 s[60:61], 0                                      // 00000000905C: BEBC0180
	v_readlane_b32 s82, v3, 8                                  // 000000009060: D2890052 00011103
	s_and_b32 s82, s82, 0xffffff                               // 000000009068: 8652FF52 00FFFFFF
	s_cmp_lt_u32 s82, s66                                      // 000000009070: BF0A4252
	s_cselect_b32 s20, s36, s60                                // 000000009074: 85143C24
	v_readlane_b32 s82, v3, 9                                  // 000000009078: D2890052 00011303
	s_and_b32 s82, s82, 0xffffff                               // 000000009080: 8652FF52 00FFFFFF
	s_cmp_lt_u32 s82, s66                                      // 000000009088: BF0A4252
	s_cselect_b32 s21, s36, s60                                // 00000000908C: 85153C24
	s_mov_b64 exec, s[20:21]                                   // 000000009090: BEFE0114
	global_atomic_add_f32 v6, v74, s[8:9] offset:8             // 000000009094: DD348008 00084A06
	s_mov_b64 exec, s[36:37]                                   // 00000000909C: BEFE0124
	v_mov_b32_e32 v6, v55                                      // 0000000090A0: 7E0C0337
	s_mov_b64 s[60:61], 0                                      // 0000000090A4: BEBC0180
	v_readlane_b32 s82, v3, 10                                 // 0000000090A8: D2890052 00011503
	s_and_b32 s82, s82, 0xffffff                               // 0000000090B0: 8652FF52 00FFFFFF
	s_cmp_lt_u32 s82, s66                                      // 0000000090B8: BF0A4252
	s_cselect_b32 s20, s36, s60                                // 0000000090BC: 85143C24
	v_readlane_b32 s82, v3, 11                                 // 0000000090C0: D2890052 00011703
	s_and_b32 s82, s82, 0xffffff                               // 0000000090C8: 8652FF52 00FFFFFF
	s_cmp_lt_u32 s82, s66                                      // 0000000090D0: BF0A4252
	s_cselect_b32 s21, s36, s60                                // 0000000090D4: 85153C24
	s_mov_b64 exec, s[20:21]                                   // 0000000090D8: BEFE0114
	global_atomic_add_f32 v6, v75, s[8:9] offset:8             // 0000000090DC: DD348008 00084B06
	s_mov_b64 exec, s[36:37]                                   // 0000000090E4: BEFE0124
	v_mov_b32_e32 v6, v56                                      // 0000000090E8: 7E0C0338
	s_mov_b64 s[60:61], 0                                      // 0000000090EC: BEBC0180
	v_readlane_b32 s82, v3, 12                                 // 0000000090F0: D2890052 00011903
	s_and_b32 s82, s82, 0xffffff                               // 0000000090F8: 8652FF52 00FFFFFF
	s_cmp_lt_u32 s82, s66                                      // 000000009100: BF0A4252
	s_cselect_b32 s20, s36, s60                                // 000000009104: 85143C24
	v_readlane_b32 s82, v3, 13                                 // 000000009108: D2890052 00011B03
	s_and_b32 s82, s82, 0xffffff                               // 000000009110: 8652FF52 00FFFFFF
	s_cmp_lt_u32 s82, s66                                      // 000000009118: BF0A4252
	s_cselect_b32 s21, s36, s60                                // 00000000911C: 85153C24
	s_mov_b64 exec, s[20:21]                                   // 000000009120: BEFE0114
	global_atomic_add_f32 v6, v78, s[8:9] offset:8             // 000000009124: DD348008 00084E06
	s_mov_b64 exec, s[36:37]                                   // 00000000912C: BEFE0124
	v_mov_b32_e32 v6, v57                                      // 000000009130: 7E0C0339
	s_mov_b64 s[60:61], 0                                      // 000000009134: BEBC0180
	v_readlane_b32 s82, v3, 14                                 // 000000009138: D2890052 00011D03
	s_and_b32 s82, s82, 0xffffff                               // 000000009140: 8652FF52 00FFFFFF
	s_cmp_lt_u32 s82, s66                                      // 000000009148: BF0A4252
	s_cselect_b32 s20, s36, s60                                // 00000000914C: 85143C24
	v_readlane_b32 s82, v3, 15                                 // 000000009150: D2890052 00011F03
	s_and_b32 s82, s82, 0xffffff                               // 000000009158: 8652FF52 00FFFFFF
	s_cmp_lt_u32 s82, s66                                      // 000000009160: BF0A4252
	s_cselect_b32 s21, s36, s60                                // 000000009164: 85153C24
	s_mov_b64 exec, s[20:21]                                   // 000000009168: BEFE0114
	global_atomic_add_f32 v6, v79, s[8:9] offset:8             // 00000000916C: DD348008 00084F06
	s_mov_b64 exec, s[36:37]                                   // 000000009174: BEFE0124
	v_mov_b32_e32 v6, v58                                      // 000000009178: 7E0C033A
	s_mov_b64 s[60:61], 0                                      // 00000000917C: BEBC0180
	v_readlane_b32 s82, v3, 16                                 // 000000009180: D2890052 00012103
	s_and_b32 s82, s82, 0xffffff                               // 000000009188: 8652FF52 00FFFFFF
	s_cmp_lt_u32 s82, s66                                      // 000000009190: BF0A4252
	s_cselect_b32 s20, s36, s60                                // 000000009194: 85143C24
	v_readlane_b32 s82, v3, 17                                 // 000000009198: D2890052 00012303
	s_and_b32 s82, s82, 0xffffff                               // 0000000091A0: 8652FF52 00FFFFFF
	s_cmp_lt_u32 s82, s66                                      // 0000000091A8: BF0A4252
	s_cselect_b32 s21, s36, s60                                // 0000000091AC: 85153C24
	s_mov_b64 exec, s[20:21]                                   // 0000000091B0: BEFE0114
	global_atomic_add_f32 v6, v82, s[8:9] offset:8             // 0000000091B4: DD348008 00085206
	s_mov_b64 exec, s[36:37]                                   // 0000000091BC: BEFE0124
	v_mov_b32_e32 v6, v59                                      // 0000000091C0: 7E0C033B
	s_mov_b64 s[60:61], 0                                      // 0000000091C4: BEBC0180
	v_readlane_b32 s82, v3, 18                                 // 0000000091C8: D2890052 00012503
	s_and_b32 s82, s82, 0xffffff                               // 0000000091D0: 8652FF52 00FFFFFF
	s_cmp_lt_u32 s82, s66                                      // 0000000091D8: BF0A4252
	s_cselect_b32 s20, s36, s60                                // 0000000091DC: 85143C24
	v_readlane_b32 s82, v3, 19                                 // 0000000091E0: D2890052 00012703
	s_and_b32 s82, s82, 0xffffff                               // 0000000091E8: 8652FF52 00FFFFFF
	s_cmp_lt_u32 s82, s66                                      // 0000000091F0: BF0A4252
	s_cselect_b32 s21, s36, s60                                // 0000000091F4: 85153C24
	s_mov_b64 exec, s[20:21]                                   // 0000000091F8: BEFE0114
	global_atomic_add_f32 v6, v83, s[8:9] offset:8             // 0000000091FC: DD348008 00085306
	s_mov_b64 exec, s[36:37]                                   // 000000009204: BEFE0124
	ds_write_b64 v20, v[84:85]                                 // 000000009208: D89A0000 00005414
	ds_write_b64 v20, v[88:89] offset:2176                     // 000000009210: D89A0880 00005814
	ds_write_b64 v20, v[92:93] offset:4352                     // 000000009218: D89A1100 00005C14
	ds_write_b64 v20, v[96:97] offset:6528                     // 000000009220: D89A1980 00006014
	ds_write_b64 v20, v[100:101] offset:8704                   // 000000009228: D89A2200 00006414
	s_waitcnt lgkmcnt(0)                                       // 000000009230: BF8CC07F
	s_barrier                                                  // 000000009234: BF8A0000
	ds_read_b32 v84, v21                                       // 000000009238: D86C0000 54000015
	ds_read_b32 v85, v21 offset:64                             // 000000009240: D86C0040 55000015
	ds_read_b32 v88, v21 offset:2176                           // 000000009248: D86C0880 58000015
	ds_read_b32 v89, v21 offset:2240                           // 000000009250: D86C08C0 59000015
	ds_read_b32 v92, v21 offset:4352                           // 000000009258: D86C1100 5C000015
	ds_read_b32 v93, v21 offset:4416                           // 000000009260: D86C1140 5D000015
	ds_read_b32 v96, v21 offset:6528                           // 000000009268: D86C1980 60000015
	ds_read_b32 v97, v21 offset:6592                           // 000000009270: D86C19C0 61000015
	ds_read_b32 v100, v21 offset:8704                          // 000000009278: D86C2200 64000015
	ds_read_b32 v101, v21 offset:8768                          // 000000009280: D86C2240 65000015
	s_mul_i32 s60, s65, 4                                      // 000000009288: 923C8441
	s_add_u32 s8, s60, s8                                      // 00000000928C: 8008083C
	s_addc_u32 s9, 0, s9                                       // 000000009290: 82090980
	s_waitcnt lgkmcnt(0)                                       // 000000009294: BF8CC07F
	v_mov_b32_e32 v7, 0                                        // 000000009298: 7E0E0280
	s_mov_b64 exec, s[36:37]                                   // 00000000929C: BEFE0124
	v_mov_b32_e32 v6, v50                                      // 0000000092A0: 7E0C0332
	s_mov_b64 s[60:61], 0                                      // 0000000092A4: BEBC0180
	v_readlane_b32 s82, v3, 0                                  // 0000000092A8: D2890052 00010103
	s_and_b32 s82, s82, 0xffffff                               // 0000000092B0: 8652FF52 00FFFFFF
	s_cmp_lt_u32 s82, s66                                      // 0000000092B8: BF0A4252
	s_cselect_b32 s20, s36, s60                                // 0000000092BC: 85143C24
	v_readlane_b32 s82, v3, 1                                  // 0000000092C0: D2890052 00010303
	s_and_b32 s82, s82, 0xffffff                               // 0000000092C8: 8652FF52 00FFFFFF
	s_cmp_lt_u32 s82, s66                                      // 0000000092D0: BF0A4252
	s_cselect_b32 s21, s36, s60                                // 0000000092D4: 85153C24
	s_mov_b64 exec, s[20:21]                                   // 0000000092D8: BEFE0114
	global_atomic_add_f32 v6, v84, s[8:9]                      // 0000000092DC: DD348000 00085406
	s_mov_b64 exec, s[36:37]                                   // 0000000092E4: BEFE0124
	v_mov_b32_e32 v6, v51                                      // 0000000092E8: 7E0C0333
	s_mov_b64 s[60:61], 0                                      // 0000000092EC: BEBC0180
	v_readlane_b32 s82, v3, 2                                  // 0000000092F0: D2890052 00010503
	s_and_b32 s82, s82, 0xffffff                               // 0000000092F8: 8652FF52 00FFFFFF
	s_cmp_lt_u32 s82, s66                                      // 000000009300: BF0A4252
	s_cselect_b32 s20, s36, s60                                // 000000009304: 85143C24
	v_readlane_b32 s82, v3, 3                                  // 000000009308: D2890052 00010703
	s_and_b32 s82, s82, 0xffffff                               // 000000009310: 8652FF52 00FFFFFF
	s_cmp_lt_u32 s82, s66                                      // 000000009318: BF0A4252
	s_cselect_b32 s21, s36, s60                                // 00000000931C: 85153C24
	s_mov_b64 exec, s[20:21]                                   // 000000009320: BEFE0114
	global_atomic_add_f32 v6, v85, s[8:9]                      // 000000009324: DD348000 00085506
	s_mov_b64 exec, s[36:37]                                   // 00000000932C: BEFE0124
	v_mov_b32_e32 v6, v52                                      // 000000009330: 7E0C0334
	s_mov_b64 s[60:61], 0                                      // 000000009334: BEBC0180
	v_readlane_b32 s82, v3, 4                                  // 000000009338: D2890052 00010903
	s_and_b32 s82, s82, 0xffffff                               // 000000009340: 8652FF52 00FFFFFF
	s_cmp_lt_u32 s82, s66                                      // 000000009348: BF0A4252
	s_cselect_b32 s20, s36, s60                                // 00000000934C: 85143C24
	v_readlane_b32 s82, v3, 5                                  // 000000009350: D2890052 00010B03
	s_and_b32 s82, s82, 0xffffff                               // 000000009358: 8652FF52 00FFFFFF
	s_cmp_lt_u32 s82, s66                                      // 000000009360: BF0A4252
	s_cselect_b32 s21, s36, s60                                // 000000009364: 85153C24
	s_mov_b64 exec, s[20:21]                                   // 000000009368: BEFE0114
	global_atomic_add_f32 v6, v88, s[8:9]                      // 00000000936C: DD348000 00085806
	s_mov_b64 exec, s[36:37]                                   // 000000009374: BEFE0124
	v_mov_b32_e32 v6, v53                                      // 000000009378: 7E0C0335
	s_mov_b64 s[60:61], 0                                      // 00000000937C: BEBC0180
	v_readlane_b32 s82, v3, 6                                  // 000000009380: D2890052 00010D03
	s_and_b32 s82, s82, 0xffffff                               // 000000009388: 8652FF52 00FFFFFF
	s_cmp_lt_u32 s82, s66                                      // 000000009390: BF0A4252
	s_cselect_b32 s20, s36, s60                                // 000000009394: 85143C24
	v_readlane_b32 s82, v3, 7                                  // 000000009398: D2890052 00010F03
	s_and_b32 s82, s82, 0xffffff                               // 0000000093A0: 8652FF52 00FFFFFF
	s_cmp_lt_u32 s82, s66                                      // 0000000093A8: BF0A4252
	s_cselect_b32 s21, s36, s60                                // 0000000093AC: 85153C24
	s_mov_b64 exec, s[20:21]                                   // 0000000093B0: BEFE0114
	global_atomic_add_f32 v6, v89, s[8:9]                      // 0000000093B4: DD348000 00085906
	s_mov_b64 exec, s[36:37]                                   // 0000000093BC: BEFE0124
	v_mov_b32_e32 v6, v54                                      // 0000000093C0: 7E0C0336
	s_mov_b64 s[60:61], 0                                      // 0000000093C4: BEBC0180
	v_readlane_b32 s82, v3, 8                                  // 0000000093C8: D2890052 00011103
	s_and_b32 s82, s82, 0xffffff                               // 0000000093D0: 8652FF52 00FFFFFF
	s_cmp_lt_u32 s82, s66                                      // 0000000093D8: BF0A4252
	s_cselect_b32 s20, s36, s60                                // 0000000093DC: 85143C24
	v_readlane_b32 s82, v3, 9                                  // 0000000093E0: D2890052 00011303
	s_and_b32 s82, s82, 0xffffff                               // 0000000093E8: 8652FF52 00FFFFFF
	s_cmp_lt_u32 s82, s66                                      // 0000000093F0: BF0A4252
	s_cselect_b32 s21, s36, s60                                // 0000000093F4: 85153C24
	s_mov_b64 exec, s[20:21]                                   // 0000000093F8: BEFE0114
	global_atomic_add_f32 v6, v92, s[8:9]                      // 0000000093FC: DD348000 00085C06
	s_mov_b64 exec, s[36:37]                                   // 000000009404: BEFE0124
	v_mov_b32_e32 v6, v55                                      // 000000009408: 7E0C0337
	s_mov_b64 s[60:61], 0                                      // 00000000940C: BEBC0180
	v_readlane_b32 s82, v3, 10                                 // 000000009410: D2890052 00011503
	s_and_b32 s82, s82, 0xffffff                               // 000000009418: 8652FF52 00FFFFFF
	s_cmp_lt_u32 s82, s66                                      // 000000009420: BF0A4252
	s_cselect_b32 s20, s36, s60                                // 000000009424: 85143C24
	v_readlane_b32 s82, v3, 11                                 // 000000009428: D2890052 00011703
	s_and_b32 s82, s82, 0xffffff                               // 000000009430: 8652FF52 00FFFFFF
	s_cmp_lt_u32 s82, s66                                      // 000000009438: BF0A4252
	s_cselect_b32 s21, s36, s60                                // 00000000943C: 85153C24
	s_mov_b64 exec, s[20:21]                                   // 000000009440: BEFE0114
	global_atomic_add_f32 v6, v93, s[8:9]                      // 000000009444: DD348000 00085D06
	s_mov_b64 exec, s[36:37]                                   // 00000000944C: BEFE0124
	v_mov_b32_e32 v6, v56                                      // 000000009450: 7E0C0338
	s_mov_b64 s[60:61], 0                                      // 000000009454: BEBC0180
	v_readlane_b32 s82, v3, 12                                 // 000000009458: D2890052 00011903
	s_and_b32 s82, s82, 0xffffff                               // 000000009460: 8652FF52 00FFFFFF
	s_cmp_lt_u32 s82, s66                                      // 000000009468: BF0A4252
	s_cselect_b32 s20, s36, s60                                // 00000000946C: 85143C24
	v_readlane_b32 s82, v3, 13                                 // 000000009470: D2890052 00011B03
	s_and_b32 s82, s82, 0xffffff                               // 000000009478: 8652FF52 00FFFFFF
	s_cmp_lt_u32 s82, s66                                      // 000000009480: BF0A4252
	s_cselect_b32 s21, s36, s60                                // 000000009484: 85153C24
	s_mov_b64 exec, s[20:21]                                   // 000000009488: BEFE0114
	global_atomic_add_f32 v6, v96, s[8:9]                      // 00000000948C: DD348000 00086006
	s_mov_b64 exec, s[36:37]                                   // 000000009494: BEFE0124
	v_mov_b32_e32 v6, v57                                      // 000000009498: 7E0C0339
	s_mov_b64 s[60:61], 0                                      // 00000000949C: BEBC0180
	v_readlane_b32 s82, v3, 14                                 // 0000000094A0: D2890052 00011D03
	s_and_b32 s82, s82, 0xffffff                               // 0000000094A8: 8652FF52 00FFFFFF
	s_cmp_lt_u32 s82, s66                                      // 0000000094B0: BF0A4252
	s_cselect_b32 s20, s36, s60                                // 0000000094B4: 85143C24
	v_readlane_b32 s82, v3, 15                                 // 0000000094B8: D2890052 00011F03
	s_and_b32 s82, s82, 0xffffff                               // 0000000094C0: 8652FF52 00FFFFFF
	s_cmp_lt_u32 s82, s66                                      // 0000000094C8: BF0A4252
	s_cselect_b32 s21, s36, s60                                // 0000000094CC: 85153C24
	s_mov_b64 exec, s[20:21]                                   // 0000000094D0: BEFE0114
	global_atomic_add_f32 v6, v97, s[8:9]                      // 0000000094D4: DD348000 00086106
	s_mov_b64 exec, s[36:37]                                   // 0000000094DC: BEFE0124
	v_mov_b32_e32 v6, v58                                      // 0000000094E0: 7E0C033A
	s_mov_b64 s[60:61], 0                                      // 0000000094E4: BEBC0180
	v_readlane_b32 s82, v3, 16                                 // 0000000094E8: D2890052 00012103
	s_and_b32 s82, s82, 0xffffff                               // 0000000094F0: 8652FF52 00FFFFFF
	s_cmp_lt_u32 s82, s66                                      // 0000000094F8: BF0A4252
	s_cselect_b32 s20, s36, s60                                // 0000000094FC: 85143C24
	v_readlane_b32 s82, v3, 17                                 // 000000009500: D2890052 00012303
	s_and_b32 s82, s82, 0xffffff                               // 000000009508: 8652FF52 00FFFFFF
	s_cmp_lt_u32 s82, s66                                      // 000000009510: BF0A4252
	s_cselect_b32 s21, s36, s60                                // 000000009514: 85153C24
	s_mov_b64 exec, s[20:21]                                   // 000000009518: BEFE0114
	global_atomic_add_f32 v6, v100, s[8:9]                     // 00000000951C: DD348000 00086406
	s_mov_b64 exec, s[36:37]                                   // 000000009524: BEFE0124
	v_mov_b32_e32 v6, v59                                      // 000000009528: 7E0C033B
	s_mov_b64 s[60:61], 0                                      // 00000000952C: BEBC0180
	v_readlane_b32 s82, v3, 18                                 // 000000009530: D2890052 00012503
	s_and_b32 s82, s82, 0xffffff                               // 000000009538: 8652FF52 00FFFFFF
	s_cmp_lt_u32 s82, s66                                      // 000000009540: BF0A4252
	s_cselect_b32 s20, s36, s60                                // 000000009544: 85143C24
	v_readlane_b32 s82, v3, 19                                 // 000000009548: D2890052 00012703
	s_and_b32 s82, s82, 0xffffff                               // 000000009550: 8652FF52 00FFFFFF
	s_cmp_lt_u32 s82, s66                                      // 000000009558: BF0A4252
	s_cselect_b32 s21, s36, s60                                // 00000000955C: 85153C24
	s_mov_b64 exec, s[20:21]                                   // 000000009560: BEFE0114
	global_atomic_add_f32 v6, v101, s[8:9]                     // 000000009564: DD348000 00086506
	s_mov_b64 exec, s[36:37]                                   // 00000000956C: BEFE0124
	ds_write_b64 v20, v[86:87]                                 // 000000009570: D89A0000 00005614
	ds_write_b64 v20, v[90:91] offset:2176                     // 000000009578: D89A0880 00005A14
	ds_write_b64 v20, v[94:95] offset:4352                     // 000000009580: D89A1100 00005E14
	ds_write_b64 v20, v[98:99] offset:6528                     // 000000009588: D89A1980 00006214
	ds_write_b64 v20, v[102:103] offset:8704                   // 000000009590: D89A2200 00006614
	s_waitcnt lgkmcnt(0)                                       // 000000009598: BF8CC07F
	s_barrier                                                  // 00000000959C: BF8A0000
	ds_read_b32 v86, v21                                       // 0000000095A0: D86C0000 56000015
	ds_read_b32 v87, v21 offset:64                             // 0000000095A8: D86C0040 57000015
	ds_read_b32 v90, v21 offset:2176                           // 0000000095B0: D86C0880 5A000015
	ds_read_b32 v91, v21 offset:2240                           // 0000000095B8: D86C08C0 5B000015
	ds_read_b32 v94, v21 offset:4352                           // 0000000095C0: D86C1100 5E000015
	ds_read_b32 v95, v21 offset:4416                           // 0000000095C8: D86C1140 5F000015
	ds_read_b32 v98, v21 offset:6528                           // 0000000095D0: D86C1980 62000015
	ds_read_b32 v99, v21 offset:6592                           // 0000000095D8: D86C19C0 63000015
	ds_read_b32 v102, v21 offset:8704                          // 0000000095E0: D86C2200 66000015
	ds_read_b32 v103, v21 offset:8768                          // 0000000095E8: D86C2240 67000015
	s_waitcnt lgkmcnt(0)                                       // 0000000095F0: BF8CC07F
	v_mov_b32_e32 v7, 0                                        // 0000000095F4: 7E0E0280
	s_mov_b64 exec, s[36:37]                                   // 0000000095F8: BEFE0124
	v_mov_b32_e32 v6, v50                                      // 0000000095FC: 7E0C0332
	s_mov_b64 s[60:61], 0                                      // 000000009600: BEBC0180
	v_readlane_b32 s82, v3, 0                                  // 000000009604: D2890052 00010103
	s_and_b32 s82, s82, 0xffffff                               // 00000000960C: 8652FF52 00FFFFFF
	s_cmp_lt_u32 s82, s66                                      // 000000009614: BF0A4252
	s_cselect_b32 s20, s36, s60                                // 000000009618: 85143C24
	v_readlane_b32 s82, v3, 1                                  // 00000000961C: D2890052 00010303
	s_and_b32 s82, s82, 0xffffff                               // 000000009624: 8652FF52 00FFFFFF
	s_cmp_lt_u32 s82, s66                                      // 00000000962C: BF0A4252
	s_cselect_b32 s21, s36, s60                                // 000000009630: 85153C24
	s_mov_b64 exec, s[20:21]                                   // 000000009634: BEFE0114
	global_atomic_add_f32 v6, v86, s[8:9] offset:8             // 000000009638: DD348008 00085606
	s_mov_b64 exec, s[36:37]                                   // 000000009640: BEFE0124
	v_mov_b32_e32 v6, v51                                      // 000000009644: 7E0C0333
	s_mov_b64 s[60:61], 0                                      // 000000009648: BEBC0180
	v_readlane_b32 s82, v3, 2                                  // 00000000964C: D2890052 00010503
	s_and_b32 s82, s82, 0xffffff                               // 000000009654: 8652FF52 00FFFFFF
	s_cmp_lt_u32 s82, s66                                      // 00000000965C: BF0A4252
	s_cselect_b32 s20, s36, s60                                // 000000009660: 85143C24
	v_readlane_b32 s82, v3, 3                                  // 000000009664: D2890052 00010703
	s_and_b32 s82, s82, 0xffffff                               // 00000000966C: 8652FF52 00FFFFFF
	s_cmp_lt_u32 s82, s66                                      // 000000009674: BF0A4252
	s_cselect_b32 s21, s36, s60                                // 000000009678: 85153C24
	s_mov_b64 exec, s[20:21]                                   // 00000000967C: BEFE0114
	global_atomic_add_f32 v6, v87, s[8:9] offset:8             // 000000009680: DD348008 00085706
	s_mov_b64 exec, s[36:37]                                   // 000000009688: BEFE0124
	v_mov_b32_e32 v6, v52                                      // 00000000968C: 7E0C0334
	s_mov_b64 s[60:61], 0                                      // 000000009690: BEBC0180
	v_readlane_b32 s82, v3, 4                                  // 000000009694: D2890052 00010903
	s_and_b32 s82, s82, 0xffffff                               // 00000000969C: 8652FF52 00FFFFFF
	s_cmp_lt_u32 s82, s66                                      // 0000000096A4: BF0A4252
	s_cselect_b32 s20, s36, s60                                // 0000000096A8: 85143C24
	v_readlane_b32 s82, v3, 5                                  // 0000000096AC: D2890052 00010B03
	s_and_b32 s82, s82, 0xffffff                               // 0000000096B4: 8652FF52 00FFFFFF
	s_cmp_lt_u32 s82, s66                                      // 0000000096BC: BF0A4252
	s_cselect_b32 s21, s36, s60                                // 0000000096C0: 85153C24
	s_mov_b64 exec, s[20:21]                                   // 0000000096C4: BEFE0114
	global_atomic_add_f32 v6, v90, s[8:9] offset:8             // 0000000096C8: DD348008 00085A06
	s_mov_b64 exec, s[36:37]                                   // 0000000096D0: BEFE0124
	v_mov_b32_e32 v6, v53                                      // 0000000096D4: 7E0C0335
	s_mov_b64 s[60:61], 0                                      // 0000000096D8: BEBC0180
	v_readlane_b32 s82, v3, 6                                  // 0000000096DC: D2890052 00010D03
	s_and_b32 s82, s82, 0xffffff                               // 0000000096E4: 8652FF52 00FFFFFF
	s_cmp_lt_u32 s82, s66                                      // 0000000096EC: BF0A4252
	s_cselect_b32 s20, s36, s60                                // 0000000096F0: 85143C24
	v_readlane_b32 s82, v3, 7                                  // 0000000096F4: D2890052 00010F03
	s_and_b32 s82, s82, 0xffffff                               // 0000000096FC: 8652FF52 00FFFFFF
	s_cmp_lt_u32 s82, s66                                      // 000000009704: BF0A4252
	s_cselect_b32 s21, s36, s60                                // 000000009708: 85153C24
	s_mov_b64 exec, s[20:21]                                   // 00000000970C: BEFE0114
	global_atomic_add_f32 v6, v91, s[8:9] offset:8             // 000000009710: DD348008 00085B06
	s_mov_b64 exec, s[36:37]                                   // 000000009718: BEFE0124
	v_mov_b32_e32 v6, v54                                      // 00000000971C: 7E0C0336
	s_mov_b64 s[60:61], 0                                      // 000000009720: BEBC0180
	v_readlane_b32 s82, v3, 8                                  // 000000009724: D2890052 00011103
	s_and_b32 s82, s82, 0xffffff                               // 00000000972C: 8652FF52 00FFFFFF
	s_cmp_lt_u32 s82, s66                                      // 000000009734: BF0A4252
	s_cselect_b32 s20, s36, s60                                // 000000009738: 85143C24
	v_readlane_b32 s82, v3, 9                                  // 00000000973C: D2890052 00011303
	s_and_b32 s82, s82, 0xffffff                               // 000000009744: 8652FF52 00FFFFFF
	s_cmp_lt_u32 s82, s66                                      // 00000000974C: BF0A4252
	s_cselect_b32 s21, s36, s60                                // 000000009750: 85153C24
	s_mov_b64 exec, s[20:21]                                   // 000000009754: BEFE0114
	global_atomic_add_f32 v6, v94, s[8:9] offset:8             // 000000009758: DD348008 00085E06
	s_mov_b64 exec, s[36:37]                                   // 000000009760: BEFE0124
	v_mov_b32_e32 v6, v55                                      // 000000009764: 7E0C0337
	s_mov_b64 s[60:61], 0                                      // 000000009768: BEBC0180
	v_readlane_b32 s82, v3, 10                                 // 00000000976C: D2890052 00011503
	s_and_b32 s82, s82, 0xffffff                               // 000000009774: 8652FF52 00FFFFFF
	s_cmp_lt_u32 s82, s66                                      // 00000000977C: BF0A4252
	s_cselect_b32 s20, s36, s60                                // 000000009780: 85143C24
	v_readlane_b32 s82, v3, 11                                 // 000000009784: D2890052 00011703
	s_and_b32 s82, s82, 0xffffff                               // 00000000978C: 8652FF52 00FFFFFF
	s_cmp_lt_u32 s82, s66                                      // 000000009794: BF0A4252
	s_cselect_b32 s21, s36, s60                                // 000000009798: 85153C24
	s_mov_b64 exec, s[20:21]                                   // 00000000979C: BEFE0114
	global_atomic_add_f32 v6, v95, s[8:9] offset:8             // 0000000097A0: DD348008 00085F06
	s_mov_b64 exec, s[36:37]                                   // 0000000097A8: BEFE0124
	v_mov_b32_e32 v6, v56                                      // 0000000097AC: 7E0C0338
	s_mov_b64 s[60:61], 0                                      // 0000000097B0: BEBC0180
	v_readlane_b32 s82, v3, 12                                 // 0000000097B4: D2890052 00011903
	s_and_b32 s82, s82, 0xffffff                               // 0000000097BC: 8652FF52 00FFFFFF
	s_cmp_lt_u32 s82, s66                                      // 0000000097C4: BF0A4252
	s_cselect_b32 s20, s36, s60                                // 0000000097C8: 85143C24
	v_readlane_b32 s82, v3, 13                                 // 0000000097CC: D2890052 00011B03
	s_and_b32 s82, s82, 0xffffff                               // 0000000097D4: 8652FF52 00FFFFFF
	s_cmp_lt_u32 s82, s66                                      // 0000000097DC: BF0A4252
	s_cselect_b32 s21, s36, s60                                // 0000000097E0: 85153C24
	s_mov_b64 exec, s[20:21]                                   // 0000000097E4: BEFE0114
	global_atomic_add_f32 v6, v98, s[8:9] offset:8             // 0000000097E8: DD348008 00086206
	s_mov_b64 exec, s[36:37]                                   // 0000000097F0: BEFE0124
	v_mov_b32_e32 v6, v57                                      // 0000000097F4: 7E0C0339
	s_mov_b64 s[60:61], 0                                      // 0000000097F8: BEBC0180
	v_readlane_b32 s82, v3, 14                                 // 0000000097FC: D2890052 00011D03
	s_and_b32 s82, s82, 0xffffff                               // 000000009804: 8652FF52 00FFFFFF
	s_cmp_lt_u32 s82, s66                                      // 00000000980C: BF0A4252
	s_cselect_b32 s20, s36, s60                                // 000000009810: 85143C24
	v_readlane_b32 s82, v3, 15                                 // 000000009814: D2890052 00011F03
	s_and_b32 s82, s82, 0xffffff                               // 00000000981C: 8652FF52 00FFFFFF
	s_cmp_lt_u32 s82, s66                                      // 000000009824: BF0A4252
	s_cselect_b32 s21, s36, s60                                // 000000009828: 85153C24
	s_mov_b64 exec, s[20:21]                                   // 00000000982C: BEFE0114
	global_atomic_add_f32 v6, v99, s[8:9] offset:8             // 000000009830: DD348008 00086306
	s_mov_b64 exec, s[36:37]                                   // 000000009838: BEFE0124
	v_mov_b32_e32 v6, v58                                      // 00000000983C: 7E0C033A
	s_mov_b64 s[60:61], 0                                      // 000000009840: BEBC0180
	v_readlane_b32 s82, v3, 16                                 // 000000009844: D2890052 00012103
	s_and_b32 s82, s82, 0xffffff                               // 00000000984C: 8652FF52 00FFFFFF
	s_cmp_lt_u32 s82, s66                                      // 000000009854: BF0A4252
	s_cselect_b32 s20, s36, s60                                // 000000009858: 85143C24
	v_readlane_b32 s82, v3, 17                                 // 00000000985C: D2890052 00012303
	s_and_b32 s82, s82, 0xffffff                               // 000000009864: 8652FF52 00FFFFFF
	s_cmp_lt_u32 s82, s66                                      // 00000000986C: BF0A4252
	s_cselect_b32 s21, s36, s60                                // 000000009870: 85153C24
	s_mov_b64 exec, s[20:21]                                   // 000000009874: BEFE0114
	global_atomic_add_f32 v6, v102, s[8:9] offset:8            // 000000009878: DD348008 00086606
	s_mov_b64 exec, s[36:37]                                   // 000000009880: BEFE0124
	v_mov_b32_e32 v6, v59                                      // 000000009884: 7E0C033B
	s_mov_b64 s[60:61], 0                                      // 000000009888: BEBC0180
	v_readlane_b32 s82, v3, 18                                 // 00000000988C: D2890052 00012503
	s_and_b32 s82, s82, 0xffffff                               // 000000009894: 8652FF52 00FFFFFF
	s_cmp_lt_u32 s82, s66                                      // 00000000989C: BF0A4252
	s_cselect_b32 s20, s36, s60                                // 0000000098A0: 85143C24
	v_readlane_b32 s82, v3, 19                                 // 0000000098A4: D2890052 00012703
	s_and_b32 s82, s82, 0xffffff                               // 0000000098AC: 8652FF52 00FFFFFF
	s_cmp_lt_u32 s82, s66                                      // 0000000098B4: BF0A4252
	s_cselect_b32 s21, s36, s60                                // 0000000098B8: 85153C24
	s_mov_b64 exec, s[20:21]                                   // 0000000098BC: BEFE0114
	global_atomic_add_f32 v6, v103, s[8:9] offset:8            // 0000000098C0: DD348008 00086706
	s_mov_b64 exec, s[36:37]                                   // 0000000098C8: BEFE0124
	s_branch label_1BB7                                        // 0000000098CC: BF820000

00000000000098d0 <label_1BB7>:
	s_waitcnt vmcnt(0) expcnt(0) lgkmcnt(0)                    // 0000000098D0: BF8C0000
	s_endpgm                                                   // 0000000098D4: BF810000
